;; amdgpu-corpus repo=ROCm/aiter kind=harvested arch=n/a opt=n/a

/root/src/amdgpu-assembly/repos/ROCm__aiter/hsa/gfx942/pa/pa_bf16_pertokenFp8_gqa16_1tg_4w_qlen16_msk1_ps.co:	file format elf64-amdgpu

Disassembly of section .text:

0000000000002800 <_ZN5aiter42PA_A16W8_BLK1024_1TG_4W_16mx1_64nx4_MTP_PSE>:
	s_and_b32 s1, s1, 0xffff                                   // 000000002800: 8601FF01 0000FFFF
	s_load_dwordx2 s[4:5], s[0:1], 0x0                         // 000000002808: C0060100 00000000
	s_load_dwordx2 s[8:9], s[0:1], 0x10                        // 000000002810: C0060200 00000010
	s_load_dwordx2 s[12:13], s[0:1], 0x20                      // 000000002818: C0060300 00000020
	s_load_dwordx2 s[16:17], s[0:1], 0x30                      // 000000002820: C0060400 00000030
	s_load_dwordx2 s[42:43], s[0:1], 0x40                      // 000000002828: C0060A80 00000040
	s_load_dwordx2 s[40:41], s[0:1], 0x50                      // 000000002830: C0060A00 00000050
	s_load_dwordx2 s[20:21], s[0:1], 0x60                      // 000000002838: C0060500 00000060
	s_load_dwordx2 s[24:25], s[0:1], 0x70                      // 000000002840: C0060600 00000070
	s_load_dword s46, s[0:1], 0x80                             // 000000002848: C0020B80 00000080
	s_load_dword s48, s[0:1], 0x90                             // 000000002850: C0020C00 00000090
	s_load_dword s49, s[0:1], 0xa0                             // 000000002858: C0020C40 000000A0
	s_load_dword s50, s[0:1], 0xb0                             // 000000002860: C0020C80 000000B0
	s_load_dword s51, s[0:1], 0xc0                             // 000000002868: C0020CC0 000000C0
	s_load_dword s52, s[0:1], 0xd0                             // 000000002870: C0020D00 000000D0
	s_load_dword s53, s[0:1], 0xe0                             // 000000002878: C0020D40 000000E0
	s_load_dwordx2 s[44:45], s[0:1], 0x100                     // 000000002880: C0060B00 00000100
	s_load_dwordx2 s[36:37], s[0:1], 0x110                     // 000000002888: C0060900 00000110
	s_load_dwordx2 s[38:39], s[0:1], 0x120                     // 000000002890: C0060980 00000120
	s_load_dwordx2 s[28:29], s[0:1], 0x130                     // 000000002898: C0060700 00000130
	s_load_dwordx2 s[32:33], s[0:1], 0x140                     // 0000000028A0: C0060800 00000140
	s_load_dword s100, s[0:1], 0x150                           // 0000000028A8: C0021900 00000150
	s_load_dword s66, s[0:1], 0x160                            // 0000000028B0: C0021080 00000160
	v_lshrrev_b32_e32 v1, 10, v0                               // 0000000028B8: 2002008A
	v_lshrrev_b32_e32 v2, 10, v1                               // 0000000028BC: 2004028A
	v_and_b32_e32 v2, 0x3ff, v2                                // 0000000028C0: 260404FF 000003FF
	v_and_b32_e32 v1, 0x3ff, v1                                // 0000000028C8: 260202FF 000003FF
	v_and_b32_e32 v0, 0x3ff, v0                                // 0000000028D0: 260000FF 000003FF
	v_lshrrev_b32_e32 v3, 6, v0                                // 0000000028D8: 20060086
	v_and_b32_e32 v0, 63, v0                                   // 0000000028DC: 260000BF
	s_mov_b32 s58, s2                                          // 0000000028E0: BEBA0002
	v_readfirstlane_b32 s57, v3                                // 0000000028E4: 7E720503
	s_mov_b32 s56, 0x7060302                                   // 0000000028E8: BEB800FF 07060302
	v_mov_b32_e32 v102, 0xffff0000                             // 0000000028F0: 7ECC02FF FFFF0000
	v_mov_b32_e32 v103, 0x7fff0000                             // 0000000028F8: 7ECE02FF 7FFF0000
	v_mov_b32_e32 v104, 0x7fff                                 // 000000002900: 7ED002FF 00007FFF
	v_mov_b32_e32 v107, 0xff800000                             // 000000002908: 7ED602FF FF800000
	s_waitcnt lgkmcnt(0)                                       // 000000002910: BF8CC07F
	s_lshl_b32 s54, s58, 2                                     // 000000002914: 8E36823A
	s_and_b32 s37, s37, 0xffff                                 // 000000002918: 8625FF25 0000FFFF
	s_load_dwordx2 s[80:81], s[36:37], s54                     // 000000002920: C0041412 00000036
	s_mul_i32 s54, s53, 0x100                                  // 000000002928: 9236FF35 00000100
	s_mul_i32 s67, s48, s54                                    // 000000002930: 92433630
	s_mov_b32 s47, s46                                         // 000000002934: BEAF002E
	s_mov_b32 s10, 0x80000000                                  // 000000002938: BE8A00FF 80000000
	s_mov_b32 s11, 0x20000                                     // 000000002940: BE8B00FF 00020000
	s_and_b32 s9, s9, 0xffff                                   // 000000002948: 8609FF09 0000FFFF
	s_or_b32 s9, s9, 0                                         // 000000002950: 87098009
	s_mov_b32 s84, s8                                          // 000000002954: BED40008
	s_mov_b32 s85, s9                                          // 000000002958: BED50009
	s_mov_b32 s6, 0x80000000                                   // 00000000295C: BE8600FF 80000000
	s_mov_b32 s7, 0x20000                                      // 000000002964: BE8700FF 00020000
	s_and_b32 s5, s5, 0xffff                                   // 00000000296C: 8605FF05 0000FFFF
	s_or_b32 s5, s5, 0                                         // 000000002974: 87058005
	s_mov_b32 s82, s4                                          // 000000002978: BED20004
	s_mov_b32 s83, s5                                          // 00000000297C: BED30005
	s_mov_b32 s30, 0x80000000                                  // 000000002980: BE9E00FF 80000000
	s_mov_b32 s31, 0x20000                                     // 000000002988: BE9F00FF 00020000
	s_and_b32 s29, s29, 0xffff                                 // 000000002990: 861DFF1D 0000FFFF
	s_or_b32 s29, s29, 0                                       // 000000002998: 871D801D
	s_mov_b32 s94, s28                                         // 00000000299C: BEDE001C
	s_mov_b32 s95, s29                                         // 0000000029A0: BEDF001D
	s_mov_b32 s34, 0x80000000                                  // 0000000029A4: BEA200FF 80000000
	s_mov_b32 s35, 0x20000                                     // 0000000029AC: BEA300FF 00020000
	s_and_b32 s33, s33, 0xffff                                 // 0000000029B4: 8621FF21 0000FFFF
	s_or_b32 s33, s33, 0                                       // 0000000029BC: 87218021
	s_mov_b32 s96, s32                                         // 0000000029C0: BEE00020
	s_mov_b32 s97, s33                                         // 0000000029C4: BEE10021
	s_mov_b32 s14, 0x80000000                                  // 0000000029C8: BE8E00FF 80000000
	s_mov_b32 s15, 0x20000                                     // 0000000029D0: BE8F00FF 00020000
	s_and_b32 s13, s13, 0xffff                                 // 0000000029D8: 860DFF0D 0000FFFF
	s_or_b32 s13, s13, 0                                       // 0000000029E0: 870D800D
	s_mul_i32 s55, s57, 0x100                                  // 0000000029E4: 9237FF39 00000100
	s_add_u32 s86, s12, s55                                    // 0000000029EC: 8056370C
	s_addc_u32 s87, s13, 0                                     // 0000000029F0: 8257800D
	s_mov_b32 s18, 0x80000000                                  // 0000000029F4: BE9200FF 80000000
	s_mov_b32 s19, 0x20000                                     // 0000000029FC: BE9300FF 00020000
	s_and_b32 s17, s17, 0xffff                                 // 000000002A04: 8611FF11 0000FFFF
	s_or_b32 s17, s17, 0                                       // 000000002A0C: 87118011
	s_add_u32 s88, s16, s55                                    // 000000002A10: 80583710
	s_addc_u32 s89, s17, 0                                     // 000000002A14: 82598011
	s_mov_b32 s22, 0x80000000                                  // 000000002A18: BE9600FF 80000000
	s_mov_b32 s23, 0x20000                                     // 000000002A20: BE9700FF 00020000
	s_and_b32 s21, s21, 0xffff                                 // 000000002A28: 8615FF15 0000FFFF
	s_or_b32 s21, s21, 0                                       // 000000002A30: 87158015
	s_mul_i32 s55, s57, 64                                     // 000000002A34: 9237C039
	s_add_u32 s90, s20, s55                                    // 000000002A38: 805A3714
	s_addc_u32 s91, s21, 0                                     // 000000002A3C: 825B8015
	s_mov_b32 s26, 0x80000000                                  // 000000002A40: BE9A00FF 80000000
	s_mov_b32 s27, 0x20000                                     // 000000002A48: BE9B00FF 00020000
	s_and_b32 s25, s25, 0xffff                                 // 000000002A50: 8619FF19 0000FFFF
	s_or_b32 s25, s25, 0                                       // 000000002A58: 87198019
	s_add_u32 s92, s24, s55                                    // 000000002A5C: 805C3718
	s_addc_u32 s93, s25, 0                                     // 000000002A60: 825D8019
	s_and_b32 s39, s39, 0xffff                                 // 000000002A64: 8627FF27 0000FFFF
	s_and_b32 s41, s41, 0xffff                                 // 000000002A6C: 8629FF29 0000FFFF
	s_and_b32 s43, s43, 0xffff                                 // 000000002A74: 862BFF2B 0000FFFF
	s_and_b32 s45, s45, 0xffff                                 // 000000002A7C: 862DFF2D 0000FFFF
	v_and_b32_e32 v84, 15, v0                                  // 000000002A84: 26A8008F
	v_lshlrev_b32_e32 v84, 4, v84                              // 000000002A88: 24A8A884
	s_lshl_b32 s54, s57, 2                                     // 000000002A8C: 8E368239
	v_lshrrev_b32_e32 v76, 4, v0                               // 000000002A90: 20980084
	v_add_u32_e32 v76, s54, v76                                // 000000002A94: 68989836
	v_cvt_f32_u32_e32 v72, s53                                 // 000000002A98: 7E900C35
	v_sub_i32 v80, 0, s53                                      // 000000002A9C: D29D0050 00006A80
	v_rcp_iflag_f32_e32 v72, v72                               // 000000002AA4: 7E904748
	s_nop 0                                                    // 000000002AA8: BF800000
	v_mul_f32_e32 v72, 0x4f7ffffe, v72                         // 000000002AAC: 0A9090FF 4F7FFFFE
	v_cvt_u32_f32_e32 v72, v72                                 // 000000002AB4: 7E900F48
	v_mul_lo_u32 v73, v80, v72                                 // 000000002AB8: D2850049 00029150
	v_mul_hi_u32 v73, v72, v73                                 // 000000002AC0: D2860049 00029348
	v_add_u32_e32 v72, v72, v73                                // 000000002AC8: 68909348
	v_mul_hi_u32 v72, v76, v72                                 // 000000002ACC: D2860048 0002914C
	v_mul_lo_u32 v73, v72, s53                                 // 000000002AD4: D2850049 00006B48
	v_sub_u32_e32 v75, v76, v73                                // 000000002ADC: 6A96934C
	v_add_u32_e32 v74, 1, v72                                  // 000000002AE0: 68949081
	v_cmp_le_u32_e32 vcc, s53, v75                             // 000000002AE4: 7D969635
	v_subrev_u32_e32 v73, s53, v75                             // 000000002AE8: 6C929635
	s_nop 0                                                    // 000000002AEC: BF800000
	v_cndmask_b32_e32 v72, v72, v74, vcc                       // 000000002AF0: 00909548
	v_cndmask_b32_e32 v75, v75, v73, vcc                       // 000000002AF4: 0096934B
	v_add_u32_e32 v73, 1, v72                                  // 000000002AF8: 68929081
	v_cmp_le_u32_e32 vcc, s53, v75                             // 000000002AFC: 7D969635
	s_nop 1                                                    // 000000002B00: BF800001
	v_cndmask_b32_e32 v80, v72, v73, vcc                       // 000000002B04: 00A09348
	v_mul_i32_i24_e32 v74, s53, v80                            // 000000002B08: 0C94A035
	v_sub_u32_e32 v74, v76, v74                                // 000000002B0C: 6A94954C
	v_mul_u32_u24_e32 v74, 0x100, v74                          // 000000002B10: 109494FF 00000100
	v_mul_u32_u24_e32 v108, s49, v80                           // 000000002B18: 10D8A031
	v_add3_u32 v108, v74, v108, v84                            // 000000002B1C: D1FF006C 0552D94A
	v_mul_u32_u24_e32 v109, s67, v80                           // 000000002B24: 10DAA043
	v_add3_u32 v109, v74, v109, v84                            // 000000002B28: D1FF006D 0552DB4A
	s_lshl_b32 s54, s57, 6                                     // 000000002B30: 8E368639
	v_lshrrev_b32_e32 v84, 4, v0                               // 000000002B34: 20A80084
	v_lshlrev_b32_e32 v84, 4, v84                              // 000000002B38: 24A8A884
	v_add_u32_e32 v84, s54, v84                                // 000000002B3C: 68A8A836
	v_and_b32_e32 v76, 15, v0                                  // 000000002B40: 2698008F
	s_mul_i32 s54, s48, s53                                    // 000000002B44: 92363530
	s_lshl_b32 s54, s54, 2                                     // 000000002B48: 8E368236
	s_mul_i32 s55, s54, 0x80                                   // 000000002B4C: 9237FF36 00000080
	v_cvt_f32_u32_e32 v72, s53                                 // 000000002B54: 7E900C35
	v_sub_i32 v80, 0, s53                                      // 000000002B58: D29D0050 00006A80
	v_rcp_iflag_f32_e32 v72, v72                               // 000000002B60: 7E904748
	s_nop 0                                                    // 000000002B64: BF800000
	v_mul_f32_e32 v72, 0x4f7ffffe, v72                         // 000000002B68: 0A9090FF 4F7FFFFE
	v_cvt_u32_f32_e32 v72, v72                                 // 000000002B70: 7E900F48
	v_mul_lo_u32 v73, v80, v72                                 // 000000002B74: D2850049 00029150
	v_mul_hi_u32 v73, v72, v73                                 // 000000002B7C: D2860049 00029348
	v_add_u32_e32 v72, v72, v73                                // 000000002B84: 68909348
	v_mul_hi_u32 v72, v76, v72                                 // 000000002B88: D2860048 0002914C
	v_mul_lo_u32 v73, v72, s53                                 // 000000002B90: D2850049 00006B48
	v_sub_u32_e32 v75, v76, v73                                // 000000002B98: 6A96934C
	v_add_u32_e32 v74, 1, v72                                  // 000000002B9C: 68949081
	v_cmp_le_u32_e32 vcc, s53, v75                             // 000000002BA0: 7D969635
	v_subrev_u32_e32 v73, s53, v75                             // 000000002BA4: 6C929635
	s_nop 0                                                    // 000000002BA8: BF800000
	v_cndmask_b32_e32 v72, v72, v74, vcc                       // 000000002BAC: 00909548
	v_cndmask_b32_e32 v75, v75, v73, vcc                       // 000000002BB0: 0096934B
	v_add_u32_e32 v73, 1, v72                                  // 000000002BB4: 68929081
	v_cmp_le_u32_e32 vcc, s53, v75                             // 000000002BB8: 7D969635
	s_nop 1                                                    // 000000002BBC: BF800001
	v_cndmask_b32_e32 v80, v72, v73, vcc                       // 000000002BC0: 00A09348
	v_mul_i32_i24_e32 v74, s53, v80                            // 000000002BC4: 0C94A035
	v_sub_u32_e32 v74, v76, v74                                // 000000002BC8: 6A94954C
	v_lshlrev_b32_e32 v75, 2, v74                              // 000000002BCC: 24969482
	v_mul_u32_u24_e32 v118, s54, v80                           // 000000002BD0: 10ECA036
	v_add_u32_e32 v118, v75, v118                              // 000000002BD4: 68ECED4B
	v_mul_u32_u24_e32 v75, 0x200, v74                          // 000000002BD8: 109694FF 00000200
	v_mul_u32_u24_e32 v120, s55, v80                           // 000000002BE0: 10F0A037
	v_add3_u32 v120, v75, v120, v84                            // 000000002BE4: D1FF0078 0552F14B
	s_lshl_b32 s54, s57, 4                                     // 000000002BEC: 8E368439
	v_and_b32_e32 v72, 15, v0                                  // 000000002BF0: 2690008F
	v_mul_i32_i24_e32 v72, 0x50, v72                           // 000000002BF4: 0C9090FF 00000050
	v_lshrrev_b32_e32 v73, 4, v0                               // 000000002BFC: 20920084
	v_lshlrev_b32_e32 v73, 2, v73                              // 000000002C00: 24929282
	v_add3_u32 v122, v72, v73, s54                             // 000000002C04: D1FF007A 00DA9348
	v_and_b32_e32 v123, 15, v0                                 // 000000002C0C: 26F6008F
	v_lshlrev_b32_e32 v123, 2, v123                            // 000000002C10: 24F6F682
	s_mul_i32 s54, s57, 0x240                                  // 000000002C14: 9236FF39 00000240
	v_lshrrev_b32_e32 v72, 4, v0                               // 000000002C1C: 20900084
	v_lshlrev_b32_e32 v72, 7, v72                              // 000000002C20: 24909087
	v_lshrrev_b32_e32 v73, 5, v0                               // 000000002C24: 20920085
	v_lshlrev_b32_e32 v73, 5, v73                              // 000000002C28: 24929285
	v_and_b32_e32 v74, 15, v0                                  // 000000002C2C: 2694008F
	v_lshlrev_b32_e32 v74, 3, v74                              // 000000002C30: 24949483
	v_add3_u32 v72, v72, v73, v74                              // 000000002C34: D1FF0048 052A9348
	v_add_u32_e32 v124, s54, v72                               // 000000002C3C: 68F89036
	v_and_b32_e32 v72, 15, v0                                  // 000000002C40: 2690008F
	v_lshlrev_b32_e32 v73, 7, v72                              // 000000002C44: 24929087
	v_lshrrev_b32_e32 v72, 1, v72                              // 000000002C48: 20909081
	v_lshlrev_b32_e32 v72, 5, v72                              // 000000002C4C: 24909085
	v_lshrrev_b32_e32 v74, 4, v0                               // 000000002C50: 20940084
	v_lshlrev_b32_e32 v74, 4, v74                              // 000000002C54: 24949484
	v_add3_u32 v125, v72, v73, v74                             // 000000002C58: D1FF007D 052A9348
	s_mul_i32 s54, s57, 0x240                                  // 000000002C60: 9236FF39 00000240
	v_lshrrev_b32_e32 v72, 5, v0                               // 000000002C68: 20900085
	v_mul_i32_i24_e32 v72, 0x120, v72                          // 000000002C6C: 0C9090FF 00000120
	v_lshrrev_b32_e32 v73, 4, v0                               // 000000002C74: 20920084
	v_and_b32_e32 v73, 1, v73                                  // 000000002C78: 26929281
	v_lshlrev_b32_e32 v73, 3, v73                              // 000000002C7C: 24929283
	v_and_b32_e32 v74, 15, v0                                  // 000000002C80: 2694008F
	v_lshlrev_b32_e32 v74, 4, v74                              // 000000002C84: 24949484
	v_add3_u32 v126, v72, v73, v74                             // 000000002C88: D1FF007E 052A9348
	v_add_u32_e32 v126, s54, v126                              // 000000002C90: 68FCFC36
	s_lshl_b32 s54, s57, 6                                     // 000000002C94: 8E368639
	v_lshrrev_b32_e32 v72, 4, v0                               // 000000002C98: 20900084
	v_lshlrev_b32_e32 v72, 4, v72                              // 000000002C9C: 24909084
	v_and_b32_e32 v73, 15, v0                                  // 000000002CA0: 2692008F
	v_mul_i32_i24_e32 v73, 0x120, v73                          // 000000002CA4: 0C9292FF 00000120
	v_add3_u32 v127, v72, v73, s54                             // 000000002CAC: D1FF007F 00DA9348
	v_lshrrev_b32_e32 v72, 4, v0                               // 000000002CB4: 20900084
	v_and_b32_e32 v73, 15, v0                                  // 000000002CB8: 2692008F
	v_lshlrev_b32_e32 v74, 4, v73                              // 000000002CBC: 24949284
	v_mul_i32_i24_e32 v110, 0x4000, v72                        // 000000002CC0: 0CDC90FF 00004000
	v_add_u32_e32 v110, v74, v110                              // 000000002CC8: 68DCDD4A
	v_add_u32_e32 v111, 0x10000, v110                          // 000000002CCC: 68DEDCFF 00010000
	v_mul_i32_i24_e32 v112, 0x800, v72                         // 000000002CD4: 0CE090FF 00000800
	v_add_u32_e32 v112, v74, v112                              // 000000002CDC: 68E0E14A
	v_add_u32_e32 v113, 0x2000, v112                           // 000000002CE0: 68E2E0FF 00002000
	v_add_u32_e32 v114, 0x2000, v113                           // 000000002CE8: 68E4E2FF 00002000
	v_add_u32_e32 v115, 0x2000, v114                           // 000000002CF0: 68E6E4FF 00002000
	v_lshlrev_b32_e32 v72, 2, v72                              // 000000002CF8: 24909082
	v_lshrrev_b32_e32 v73, 2, v73                              // 000000002CFC: 20929282
	v_lshlrev_b32_e32 v73, 6, v73                              // 000000002D00: 24929286
	v_and_b32_e32 v74, 3, v0                                   // 000000002D04: 26940083
	v_add3_u32 v72, v72, v73, v74                              // 000000002D08: D1FF0048 052A9348
	v_lshlrev_b32_e32 v116, 2, v72                             // 000000002D10: 24E89082
	v_mov_b32_e32 v117, v116                                   // 000000002D14: 7EEA0374
	s_lshl_b32 s54, s57, 4                                     // 000000002D18: 8E368439
	v_lshrrev_b32_e32 v106, 4, v0                              // 000000002D1C: 20D40084
	v_lshlrev_b32_e32 v106, 2, v106                            // 000000002D20: 24D4D482
	v_add_u32_e32 v106, s54, v106                              // 000000002D24: 68D4D436
	s_lshl_b32 s54, s57, 6                                     // 000000002D28: 8E368639
	v_add_u32_e32 v128, s54, v0                                // 000000002D2C: 69000036
	v_lshlrev_b32_e32 v128, 2, v128                            // 000000002D30: 25010082
	v_and_b32_e32 v129, 15, v0                                 // 000000002D34: 2702008F
	v_lshlrev_b32_e32 v129, 2, v129                            // 000000002D38: 25030282
	s_lshl_b32 s54, s57, 8                                     // 000000002D3C: 8E368839
	v_and_b32_e32 v73, 15, v0                                  // 000000002D40: 2692008F
	v_lshlrev_b32_e32 v73, 4, v73                              // 000000002D44: 24929284
	v_lshrrev_b32_e32 v74, 4, v0                               // 000000002D48: 20940084
	v_lshlrev_b32_e32 v74, 2, v74                              // 000000002D4C: 24949482
	v_add3_u32 v130, v73, v74, s54                             // 000000002D50: D1FF0082 00DA9549
	v_and_b32_e32 v72, 15, v0                                  // 000000002D58: 2690008F
	v_lshlrev_b32_e32 v72, 4, v72                              // 000000002D5C: 24909084
	v_lshrrev_b32_e32 v73, 4, v0                               // 000000002D60: 20920084
	v_lshlrev_b32_e32 v73, 8, v73                              // 000000002D64: 24929288
	v_add_u32_e32 v131, v72, v73                               // 000000002D68: 69069348
	s_waitcnt lgkmcnt(0)                                       // 000000002D6C: BF8CC07F

0000000000002d70 <label_015C>:
	s_cmp_lt_i32 s80, s81                                      // 000000002D70: BF045150
	s_cbranch_scc0 label_22A1                                  // 000000002D74: BF842143
	s_lshl_b32 s54, s80, 5                                     // 000000002D78: 8E368550
	s_load_dwordx8 s[72:79], s[38:39], s54                     // 000000002D7C: C00C1213 00000036
	v_mov_b32_e32 v96, 0xff7fffff                              // 000000002D84: 7EC002FF FF7FFFFF
	v_mov_b64_e32 v[94:95], 0                                  // 000000002D8C: 7EBC7080
	v_mov_b64_e32 v[98:99], 0                                  // 000000002D90: 7EC47080
	v_mov_b64_e32 v[70:71], 0                                  // 000000002D94: 7E8C7080
	v_mov_b32_e32 v56, 0                                       // 000000002D98: 7E700280
	v_mov_b32_e32 v48, 0                                       // 000000002D9C: 7E600280
	v_mov_b32_e32 v57, 0                                       // 000000002DA0: 7E720280
	v_mov_b32_e32 v49, 0                                       // 000000002DA4: 7E620280
	v_mov_b32_e32 v58, 0                                       // 000000002DA8: 7E740280
	v_mov_b32_e32 v50, 0                                       // 000000002DAC: 7E640280
	v_mov_b32_e32 v59, 0                                       // 000000002DB0: 7E760280
	v_mov_b32_e32 v51, 0                                       // 000000002DB4: 7E660280
	v_mov_b32_e32 v60, 0                                       // 000000002DB8: 7E780280
	v_mov_b32_e32 v52, 0                                       // 000000002DBC: 7E680280
	v_mov_b32_e32 v61, 0                                       // 000000002DC0: 7E7A0280
	v_mov_b32_e32 v53, 0                                       // 000000002DC4: 7E6A0280
	v_mov_b32_e32 v62, 0                                       // 000000002DC8: 7E7C0280
	v_mov_b32_e32 v54, 0                                       // 000000002DCC: 7E6C0280
	v_mov_b32_e32 v63, 0                                       // 000000002DD0: 7E7E0280
	v_mov_b32_e32 v55, 0                                       // 000000002DD4: 7E6E0280
	s_waitcnt lgkmcnt(0)                                       // 000000002DD8: BF8CC07F
	s_mul_i32 s64, s76, 0x400                                  // 000000002DDC: 9240FF4C 00000400
	s_lshl_b32 s54, s72, 2                                     // 000000002DE4: 8E368248
	s_load_dword s60, s[44:45], s54                            // 000000002DE8: C0000F16 00000036
	s_load_dword s61, s[40:41], s54                            // 000000002DF0: C0000F54 00000036
	s_lshl_b32 s68, s76, 2                                     // 000000002DF8: 8E44824C
	s_cmp_lt_u32 s76, s77                                      // 000000002DFC: BF0A4D4C
	s_cselect_b32 s68, s68, 0                                  // 000000002E00: 85448044
	s_addk_i32 s76, 0x1                                        // 000000002E04: B74C0001
	s_load_dword s59, s[42:43], s68                            // 000000002E08: C0000ED5 00000044
	s_and_b32 s79, s79, 0xffff                                 // 000000002E10: 864FFF4F 0000FFFF
	v_cvt_f32_u32_e32 v72, s53                                 // 000000002E18: 7E900C35
	s_sub_i32 s78, 0, s53                                      // 000000002E1C: 81CE3580
	v_rcp_iflag_f32_e32 v72, v72                               // 000000002E20: 7E904748
	s_nop 0                                                    // 000000002E24: BF800000
	v_mul_f32_e32 v72, 0x4f7ffffe, v72                         // 000000002E28: 0A9090FF 4F7FFFFE
	v_cvt_u32_f32_e32 v72, v72                                 // 000000002E30: 7E900F48
	v_mul_lo_u32 v73, s78, v72                                 // 000000002E34: D2850049 0002904E
	v_mul_hi_u32 v73, v72, v73                                 // 000000002E3C: D2860049 00029348
	v_add_u32_e32 v72, v72, v73                                // 000000002E44: 68909348
	v_mul_hi_u32 v72, s79, v72                                 // 000000002E48: D2860048 0002904F
	v_mul_lo_u32 v73, v72, s53                                 // 000000002E50: D2850049 00006B48
	v_sub_u32_e32 v75, s79, v73                                // 000000002E58: 6A96924F
	v_add_u32_e32 v74, 1, v72                                  // 000000002E5C: 68949081
	v_cmp_le_u32_e32 vcc, s53, v75                             // 000000002E60: 7D969635
	v_subrev_u32_e32 v73, s53, v75                             // 000000002E64: 6C929635
	s_nop 0                                                    // 000000002E68: BF800000
	v_cndmask_b32_e32 v72, v72, v74, vcc                       // 000000002E6C: 00909548
	v_cndmask_b32_e32 v75, v75, v73, vcc                       // 000000002E70: 0096934B
	v_add_u32_e32 v73, 1, v72                                  // 000000002E74: 68929081
	v_cmp_le_u32_e32 vcc, s53, v75                             // 000000002E78: 7D969635
	s_nop 1                                                    // 000000002E7C: BF800001
	v_cndmask_b32_e32 v75, v72, v73, vcc                       // 000000002E80: 00969348
	s_nop 3                                                    // 000000002E84: BF800003
	v_readfirstlane_b32 s78, v75                               // 000000002E88: 7E9C054B
	s_nop 3                                                    // 000000002E8C: BF800003
	s_mul_i32 s65, s53, 0x100                                  // 000000002E90: 9241FF35 00000100
	s_add_u32 s54, s52, 1                                      // 000000002E98: 80368134
	s_mul_i32 s54, s49, s54                                    // 000000002E9C: 92363631
	s_mul_i32 s54, s72, s54                                    // 000000002EA0: 92363648
	s_mul_i32 s55, s78, s65                                    // 000000002EA4: 9237414E
	s_add_u32 s54, s54, s55                                    // 000000002EA8: 80363736
	s_add_u32 s8, s84, s54                                     // 000000002EAC: 80083654
	s_addc_u32 s9, s85, 0                                      // 000000002EB0: 82098055
	s_mul_i32 s54, s52, s49                                    // 000000002EB4: 92363134
	s_add_u32 s10, s54, s65                                    // 000000002EB8: 800A4136
	s_add_u32 s54, s52, 1                                      // 000000002EBC: 80368134
	s_mul_i32 s54, s54, s67                                    // 000000002EC0: 92364336
	s_mul_i32 s54, s54, s72                                    // 000000002EC4: 92364836
	s_mul_i32 s55, s78, s65                                    // 000000002EC8: 9237414E
	s_add_u32 s54, s54, s55                                    // 000000002ECC: 80363736
	s_add_u32 s4, s82, s54                                     // 000000002ED0: 80043652
	s_addc_u32 s5, s83, 0                                      // 000000002ED4: 82058053
	s_mul_i32 s54, s52, s67                                    // 000000002ED8: 92364334
	s_add_u32 s6, s54, s65                                     // 000000002EDC: 80064136
	s_mul_i32 s55, s53, 0x200                                  // 000000002EE0: 9237FF35 00000200
	s_mul_i32 s54, s73, s48                                    // 000000002EE8: 92363049
	s_add_u32 s54, s54, s78                                    // 000000002EEC: 80364E36
	s_mul_i32 s54, s54, s55                                    // 000000002EF0: 92363736
	s_add_u32 s28, s94, s54                                    // 000000002EF4: 801C365E
	s_addc_u32 s29, s95, 0                                     // 000000002EF8: 821D805F
	s_add_u32 s54, s52, 1                                      // 000000002EFC: 80368134
	s_mul_i32 s54, s54, s48                                    // 000000002F00: 92363036
	s_mul_i32 s30, s54, s55                                    // 000000002F04: 921E3736
	s_mul_i32 s55, s53, 4                                      // 000000002F08: 92378435
	s_mul_i32 s54, s73, s48                                    // 000000002F0C: 92363049
	s_add_u32 s54, s54, s78                                    // 000000002F10: 80364E36
	s_mul_i32 s54, s54, s55                                    // 000000002F14: 92363736
	s_add_u32 s32, s96, s54                                    // 000000002F18: 80203660
	s_addc_u32 s33, s97, 0                                     // 000000002F1C: 82218061
	s_add_u32 s54, s52, 1                                      // 000000002F20: 80368134
	s_mul_i32 s54, s54, s48                                    // 000000002F24: 92363036
	s_mul_i32 s34, s54, s55                                    // 000000002F28: 92223736
	buffer_load_dwordx4 v[4:7], v108, s[8:11], 0 offen         // 000000002F2C: E05C1000 8002046C
	s_waitcnt lgkmcnt(0)                                       // 000000002F34: BF8CC07F
	s_mul_i32 s54, s60, 0x400                                  // 000000002F38: 9236FF3C 00000400
	s_sub_i32 s64, s64, s54                                    // 000000002F40: 81C03640
	s_mul_i32 s69, s59, s50                                    // 000000002F44: 9245323B
	s_mul_i32 s71, s59, s66                                    // 000000002F48: 9247423B
	s_mul_i32 s54, s78, s51                                    // 000000002F4C: 9236334E
	s_add_u32 s69, s69, s54                                    // 000000002F50: 80453645
	s_mov_b32 s70, s69                                         // 000000002F54: BEC60045
	s_mul_i32 s54, s78, s100                                   // 000000002F58: 9236644E
	s_add_u32 s71, s71, s54                                    // 000000002F5C: 80473647
	s_add_u32 s12, s86, s69                                    // 000000002F60: 800C4556
	s_addc_u32 s13, s87, 0                                     // 000000002F64: 820D8057
	s_add_u32 s16, s88, s70                                    // 000000002F68: 80104658
	s_addc_u32 s17, s89, 0                                     // 000000002F6C: 82118059
	s_add_u32 s20, s90, s71                                    // 000000002F70: 8014475A
	s_addc_u32 s21, s91, 0                                     // 000000002F74: 8215805B
	s_add_u32 s24, s92, s71                                    // 000000002F78: 8018475C
	s_addc_u32 s25, s93, 0                                     // 000000002F7C: 8219805D
	s_add_u32 s69, s69, 0x1000                                 // 000000002F80: 8045FF45 00001000
	s_add_u32 s70, s70, 0x8000                                 // 000000002F88: 8046FF46 00008000
	s_add_u32 s71, s71, 0x400                                  // 000000002F90: 8047FF47 00000400
	buffer_load_dwordx4 a[0:3], v110, s[12:15], 0 offen        // 000000002F98: E05C1000 8083006E
	buffer_load_dwordx4 a[4:7], v111, s[12:15], 0 offen        // 000000002FA0: E05C1000 8083046F
	buffer_load_dwordx4 a[8:11], v110, s[12:15], 0 offen offset:1024// 000000002FA8: E05C1400 8083086E
	buffer_load_dwordx4 a[12:15], v111, s[12:15], 0 offen offset:1024// 000000002FB0: E05C1400 80830C6F
	buffer_load_dwordx4 a[16:19], v110, s[12:15], 0 offen offset:2048// 000000002FB8: E05C1800 8083106E
	buffer_load_dwordx4 a[20:23], v111, s[12:15], 0 offen offset:2048// 000000002FC0: E05C1800 8083146F
	buffer_load_dwordx4 a[24:27], v110, s[12:15], 0 offen offset:3072// 000000002FC8: E05C1C00 8083186E
	buffer_load_dwordx4 a[28:31], v111, s[12:15], 0 offen offset:3072// 000000002FD0: E05C1C00 80831C6F
	buffer_load_dword v66, v116, s[20:23], 0 offen             // 000000002FD8: E0501000 80054274
	buffer_load_dword v68, v117, s[24:27], 0 offen             // 000000002FE0: E0501000 80064475
	buffer_load_dwordx4 a[64:67], v112, s[16:19], 0 offen      // 000000002FE8: E05C1000 80844070
	buffer_load_dwordx4 a[68:71], v113, s[16:19], 0 offen      // 000000002FF0: E05C1000 80844471
	buffer_load_dwordx4 a[72:75], v114, s[16:19], 0 offen      // 000000002FF8: E05C1000 80844872
	buffer_load_dwordx4 a[76:79], v115, s[16:19], 0 offen      // 000000003000: E05C1000 80844C73
	buffer_load_dwordx4 a[80:83], v112, s[16:19], 0 offen offset:1024// 000000003008: E05C1400 80845070
	buffer_load_dwordx4 a[84:87], v113, s[16:19], 0 offen offset:1024// 000000003010: E05C1400 80845471
	;; [unrolled: 1-line block ×3, first 2 shown]
	buffer_load_dwordx4 a[92:95], v115, s[16:19], 0 offen offset:1024// 000000003020: E05C1400 80845C73
	s_sub_i32 s54, s77, s60                                    // 000000003028: 81B63C4D
	s_mul_i32 s62, s54, 0x400                                  // 00000000302C: 923EFF36 00000400
	s_cmp_lt_i32 s62, s61                                      // 000000003034: BF043D3E
	s_cselect_b32 s62, s62, s61                                // 000000003038: 853E3D3E
	s_sub_i32 s54, s61, s52                                    // 00000000303C: 81B6343D
	v_and_b32_e32 v76, 15, v0                                  // 000000003040: 2698008F
	s_cmp_lt_i32 s62, s54                                      // 000000003044: BF04363E
	s_cselect_b32 s63, s62, s54                                // 000000003048: 853F363E
	s_and_b32 s63, s63, 0xffffff00                             // 00000000304C: 863FFF3F FFFFFF00
	v_cvt_f32_u32_e32 v72, s53                                 // 000000003054: 7E900C35
	v_sub_i32 v78, 0, s53                                      // 000000003058: D29D004E 00006A80
	v_rcp_iflag_f32_e32 v72, v72                               // 000000003060: 7E904748
	s_nop 0                                                    // 000000003064: BF800000
	v_mul_f32_e32 v72, 0x4f7ffffe, v72                         // 000000003068: 0A9090FF 4F7FFFFE
	v_cvt_u32_f32_e32 v72, v72                                 // 000000003070: 7E900F48
	v_mul_lo_u32 v73, v78, v72                                 // 000000003074: D2850049 0002914E
	v_mul_hi_u32 v73, v72, v73                                 // 00000000307C: D2860049 00029348
	v_add_u32_e32 v72, v72, v73                                // 000000003084: 68909348
	v_mul_hi_u32 v72, v76, v72                                 // 000000003088: D2860048 0002914C
	v_mul_lo_u32 v73, v72, s53                                 // 000000003090: D2850049 00006B48
	v_sub_u32_e32 v75, v76, v73                                // 000000003098: 6A96934C
	v_add_u32_e32 v74, 1, v72                                  // 00000000309C: 68949081
	v_cmp_le_u32_e32 vcc, s53, v75                             // 0000000030A0: 7D969635
	v_subrev_u32_e32 v73, s53, v75                             // 0000000030A4: 6C929635
	s_nop 0                                                    // 0000000030A8: BF800000
	v_cndmask_b32_e32 v72, v72, v74, vcc                       // 0000000030AC: 00909548
	v_cndmask_b32_e32 v75, v75, v73, vcc                       // 0000000030B0: 0096934B
	v_add_u32_e32 v73, 1, v72                                  // 0000000030B4: 68929081
	v_cmp_le_u32_e32 vcc, s53, v75                             // 0000000030B8: 7D969635
	s_nop 1                                                    // 0000000030BC: BF800001
	v_cndmask_b32_e32 v78, v72, v73, vcc                       // 0000000030C0: 009C9348
	v_add_u32_e32 v105, s54, v78                               // 0000000030C4: 68D29C36
	v_cmp_lt_u32_e32 vcc, s62, v105                            // 0000000030C8: 7D92D23E
	v_mov_b32_e32 v72, s62                                     // 0000000030CC: 7E90023E
	v_cndmask_b32_e32 v105, v105, v72, vcc                     // 0000000030D0: 00D29169
	s_waitcnt vmcnt(18)                                        // 0000000030D4: BF8C4F72
	v_lshlrev_b32_e32 v8, 16, v4                               // 0000000030D8: 24100890
	v_and_b32_e32 v9, 0xffff0000, v4                           // 0000000030DC: 261208FF FFFF0000
	v_lshlrev_b32_e32 v10, 16, v5                              // 0000000030E4: 24140A90
	v_and_b32_e32 v11, 0xffff0000, v5                          // 0000000030E8: 26160AFF FFFF0000
	v_lshlrev_b32_e32 v12, 16, v6                              // 0000000030F0: 24180C90
	v_and_b32_e32 v13, 0xffff0000, v6                          // 0000000030F4: 261A0CFF FFFF0000
	v_lshlrev_b32_e32 v14, 16, v7                              // 0000000030FC: 241C0E90
	v_and_b32_e32 v15, 0xffff0000, v7                          // 000000003100: 261E0EFF FFFF0000
	v_mov_b32_e32 v92, 0x358637bd                              // 000000003108: 7EB802FF 358637BD
	v_max3_f32 v92, |v8|, |v9|, v92                            // 000000003110: D1D3035C 05721308
	v_max3_f32 v92, |v10|, |v11|, v92                          // 000000003118: D1D3035C 0572170A
	v_max3_f32 v92, |v12|, |v13|, v92                          // 000000003120: D1D3035C 05721B0C
	v_max3_f32 v92, |v14|, |v15|, v92                          // 000000003128: D1D3035C 05721F0E
	ds_write_b32 v122, v92 offset:1280                         // 000000003130: D81A0500 00005C7A
	s_waitcnt lgkmcnt(0)                                       // 000000003138: BF8CC07F
	s_barrier                                                  // 00000000313C: BF8A0000
	ds_read_b32 v76, v123 offset:1280                          // 000000003140: D86C0500 4C00007B
	ds_read_b32 v77, v123 offset:1360                          // 000000003148: D86C0550 4D00007B
	ds_read_b32 v78, v123 offset:1440                          // 000000003150: D86C05A0 4E00007B
	ds_read_b32 v79, v123 offset:1520                          // 000000003158: D86C05F0 4F00007B
	ds_read_b32 v80, v123 offset:1600                          // 000000003160: D86C0640 5000007B
	ds_read_b32 v81, v123 offset:1680                          // 000000003168: D86C0690 5100007B
	ds_read_b32 v82, v123 offset:1760                          // 000000003170: D86C06E0 5200007B
	ds_read_b32 v83, v123 offset:1840                          // 000000003178: D86C0730 5300007B
	ds_read_b32 v84, v123 offset:1920                          // 000000003180: D86C0780 5400007B
	ds_read_b32 v85, v123 offset:2000                          // 000000003188: D86C07D0 5500007B
	ds_read_b32 v86, v123 offset:2080                          // 000000003190: D86C0820 5600007B
	ds_read_b32 v87, v123 offset:2160                          // 000000003198: D86C0870 5700007B
	ds_read_b32 v88, v123 offset:2240                          // 0000000031A0: D86C08C0 5800007B
	ds_read_b32 v89, v123 offset:2320                          // 0000000031A8: D86C0910 5900007B
	ds_read_b32 v90, v123 offset:2400                          // 0000000031B0: D86C0960 5A00007B
	ds_read_b32 v91, v123 offset:2480                          // 0000000031B8: D86C09B0 5B00007B
	s_waitcnt lgkmcnt(0)                                       // 0000000031C0: BF8CC07F
	v_mov_b32_e32 v92, 0x358637bd                              // 0000000031C4: 7EB802FF 358637BD
	v_max3_f32 v92, v76, v77, v92                              // 0000000031CC: D1D3005C 05729B4C
	v_max3_f32 v92, v78, v79, v92                              // 0000000031D4: D1D3005C 05729F4E
	v_max3_f32 v92, v80, v81, v92                              // 0000000031DC: D1D3005C 0572A350
	v_max3_f32 v92, v82, v83, v92                              // 0000000031E4: D1D3005C 0572A752
	v_max3_f32 v92, v84, v85, v92                              // 0000000031EC: D1D3005C 0572AB54
	v_max3_f32 v92, v86, v87, v92                              // 0000000031F4: D1D3005C 0572AF56
	v_max3_f32 v92, v88, v89, v92                              // 0000000031FC: D1D3005C 0572B358
	v_max3_f32 v92, v90, v91, v92                              // 000000003204: D1D3005C 0572B75A
	v_rcp_f32_e32 v92, v92                                     // 00000000320C: 7EB8455C
	s_lshl_b32 s54, s57, 2                                     // 000000003210: 8E368239
	v_lshrrev_b32_e32 v74, 4, v0                               // 000000003214: 20940084
	v_add_u32_e32 v74, s54, v74                                // 000000003218: 68949436
	v_lshlrev_b32_e32 v74, 2, v74                              // 00000000321C: 24949482
	v_mul_f32_e32 v92, 0x43700000, v92                         // 000000003220: 0AB8B8FF 43700000
	ds_bpermute_b32 v72, v74, v92                              // 000000003228: D87E0000 48005C4A
	s_waitcnt lgkmcnt(0)                                       // 000000003230: BF8CC07F
	v_mul_f32_e32 v8, v8, v72                                  // 000000003234: 0A109108
	v_mul_f32_e32 v9, v9, v72                                  // 000000003238: 0A129109
	v_mul_f32_e32 v10, v10, v72                                // 00000000323C: 0A14910A
	v_mul_f32_e32 v11, v11, v72                                // 000000003240: 0A16910B
	v_mul_f32_e32 v12, v12, v72                                // 000000003244: 0A18910C
	v_mul_f32_e32 v13, v13, v72                                // 000000003248: 0A1A910D
	v_mul_f32_e32 v14, v14, v72                                // 00000000324C: 0A1C910E
	v_mul_f32_e32 v15, v15, v72                                // 000000003250: 0A1E910F
	v_cvt_pk_fp8_f32 v8, v8, v9                                // 000000003254: D2A20008 00021308
	v_cvt_pk_fp8_f32 v8, v10, v11 op_sel:[0,0,1]               // 00000000325C: D2A24008 0002170A
	v_cvt_pk_fp8_f32 v9, v12, v13                              // 000000003264: D2A20009 00021B0C
	v_cvt_pk_fp8_f32 v9, v14, v15 op_sel:[0,0,1]               // 00000000326C: D2A24009 00021F0E
	ds_write_b64 v124, v[8:9] offset:2560                      // 000000003274: D89A0A00 0000087C
	v_rcp_f32_e32 v64, v92                                     // 00000000327C: 7E80455C
	s_nop 0                                                    // 000000003280: BF800000
	v_mov_b32_e32 v65, v64                                     // 000000003284: 7E820340
	s_waitcnt lgkmcnt(0)                                       // 000000003288: BF8CC07F
	s_barrier                                                  // 00000000328C: BF8A0000
	ds_read_b128 v[8:11], v125 offset:2560                     // 000000003290: D9FE0A00 0800007D
	ds_read_b128 v[12:15], v125 offset:2624                    // 000000003298: D9FE0A40 0C00007D
	s_waitcnt lgkmcnt(0)                                       // 0000000032A0: BF8CC07F
	s_cmp_lt_i32 s57, 2                                        // 0000000032A4: BF048239
	s_cbranch_scc0 label_0A5F                                  // 0000000032A8: BF8407B4

00000000000032ac <label_02AB>:
	s_cmp_lt_i32 s64, s63                                      // 0000000032AC: BF043F40
	s_cbranch_scc0 label_1213                                  // 0000000032B0: BF840F66
	s_waitcnt vmcnt(10)                                        // 0000000032B4: BF8C0F7A
	v_mfma_f32_16x16x32_fp8_fp8 v[16:19], a[0:1], v[8:9], 0    // 0000000032B8: D3F30010 0A021100
	s_add_u32 s12, s86, s69                                    // 0000000032C0: 800C4556
	s_addc_u32 s13, s87, 0                                     // 0000000032C4: 820D8057
	v_mfma_f32_16x16x32_fp8_fp8 v[16:19], a[2:3], v[10:11], v[16:19]// 0000000032C8: D3F30010 0C421502
	s_add_u32 s16, s88, s70                                    // 0000000032D0: 80104658
	s_addc_u32 s17, s89, 0                                     // 0000000032D4: 82118059
	v_mfma_f32_16x16x32_fp8_fp8 v[16:19], a[4:5], v[12:13], v[16:19]// 0000000032D8: D3F30010 0C421904
	buffer_load_dwordx4 a[32:35], v110, s[12:15], 0 offen      // 0000000032E0: E05C1000 8083206E
	v_mfma_f32_16x16x32_fp8_fp8 v[16:19], a[6:7], v[14:15], v[16:19]// 0000000032E8: D3F30010 0C421D06
	s_add_u32 s20, s90, s71                                    // 0000000032F0: 8014475A
	s_addc_u32 s21, s91, 0                                     // 0000000032F4: 8215805B
	v_mfma_f32_16x16x32_fp8_fp8 v[20:23], a[8:9], v[8:9], 0    // 0000000032F8: D3F30014 0A021108
	s_add_u32 s24, s92, s71                                    // 000000003300: 8018475C
	s_addc_u32 s25, s93, 0                                     // 000000003304: 8219805D
	v_mfma_f32_16x16x32_fp8_fp8 v[20:23], a[10:11], v[10:11], v[20:23]// 000000003308: D3F30014 0C52150A
	s_add_u32 s69, s69, 0x1000                                 // 000000003310: 8045FF45 00001000
	s_add_u32 s70, s70, 0x8000                                 // 000000003318: 8046FF46 00008000
	v_mfma_f32_16x16x32_fp8_fp8 v[20:23], a[12:13], v[12:13], v[20:23]// 000000003320: D3F30014 0C52190C
	buffer_load_dwordx4 a[36:39], v111, s[12:15], 0 offen      // 000000003328: E05C1000 8083246F
	v_mfma_f32_16x16x32_fp8_fp8 v[20:23], a[14:15], v[14:15], v[20:23]// 000000003330: D3F30014 0C521D0E
	s_add_u32 s71, s71, 0x400                                  // 000000003338: 8047FF47 00000400
	v_mfma_f32_16x16x32_fp8_fp8 v[24:27], a[16:17], v[8:9], 0  // 000000003340: D3F30018 0A021110
	v_mfma_f32_16x16x32_fp8_fp8 v[24:27], a[18:19], v[10:11], v[24:27]// 000000003348: D3F30018 0C621512
	v_mfma_f32_16x16x32_fp8_fp8 v[24:27], a[20:21], v[12:13], v[24:27]// 000000003350: D3F30018 0C621914
	buffer_load_dwordx4 a[40:43], v110, s[12:15], 0 offen offset:1024// 000000003358: E05C1400 8083286E
	v_mfma_f32_16x16x32_fp8_fp8 v[24:27], a[22:23], v[14:15], v[24:27]// 000000003360: D3F30018 0C621D16
	v_mfma_f32_16x16x32_fp8_fp8 v[28:31], a[24:25], v[8:9], 0  // 000000003368: D3F3001C 0A021118
	v_mfma_f32_16x16x32_fp8_fp8 v[28:31], a[26:27], v[10:11], v[28:31]// 000000003370: D3F3001C 0C72151A
	v_mfma_f32_16x16x32_fp8_fp8 v[28:31], a[28:29], v[12:13], v[28:31]// 000000003378: D3F3001C 0C72191C
	buffer_load_dwordx4 a[44:47], v111, s[12:15], 0 offen offset:1024// 000000003380: E05C1400 80832C6F
	v_mfma_f32_16x16x32_fp8_fp8 v[28:31], a[30:31], v[14:15], v[28:31]// 000000003388: D3F3001C 0C721D1E
	s_waitcnt vmcnt(12)                                        // 000000003390: BF8C0F7C
	v_pk_mul_f32 v[16:17], v[64:65], v[16:17]                  // 000000003394: D3B14010 18022140
	v_pk_mul_f32 v[18:19], v[64:65], v[18:19]                  // 00000000339C: D3B14012 18022540
	v_mul_f32_dpp v16, v66, v16 row_newbcast:0 row_mask:0xf bank_mask:0xf// 0000000033A4: 0A2020FA FF015042
	v_mul_f32_dpp v17, v66, v17 row_newbcast:1 row_mask:0xf bank_mask:0xf// 0000000033AC: 0A2222FA FF015142
	v_mul_f32_dpp v18, v66, v18 row_newbcast:2 row_mask:0xf bank_mask:0xf// 0000000033B4: 0A2424FA FF015242
	v_mul_f32_dpp v19, v66, v19 row_newbcast:3 row_mask:0xf bank_mask:0xf// 0000000033BC: 0A2626FA FF015342
	v_pk_mul_f32 v[20:21], v[64:65], v[20:21]                  // 0000000033C4: D3B14014 18022940
	v_pk_mul_f32 v[22:23], v[64:65], v[22:23]                  // 0000000033CC: D3B14016 18022D40
	v_mul_f32_dpp v20, v66, v20 row_newbcast:4 row_mask:0xf bank_mask:0xf// 0000000033D4: 0A2828FA FF015442
	v_mul_f32_dpp v21, v66, v21 row_newbcast:5 row_mask:0xf bank_mask:0xf// 0000000033DC: 0A2A2AFA FF015542
	v_mul_f32_dpp v22, v66, v22 row_newbcast:6 row_mask:0xf bank_mask:0xf// 0000000033E4: 0A2C2CFA FF015642
	v_mul_f32_dpp v23, v66, v23 row_newbcast:7 row_mask:0xf bank_mask:0xf// 0000000033EC: 0A2E2EFA FF015742
	v_pk_mul_f32 v[24:25], v[64:65], v[24:25]                  // 0000000033F4: D3B14018 18023140
	v_pk_mul_f32 v[26:27], v[64:65], v[26:27]                  // 0000000033FC: D3B1401A 18023540
	v_mul_f32_dpp v24, v66, v24 row_newbcast:8 row_mask:0xf bank_mask:0xf// 000000003404: 0A3030FA FF015842
	v_mul_f32_dpp v25, v66, v25 row_newbcast:9 row_mask:0xf bank_mask:0xf// 00000000340C: 0A3232FA FF015942
	v_mul_f32_dpp v26, v66, v26 row_newbcast:10 row_mask:0xf bank_mask:0xf// 000000003414: 0A3434FA FF015A42
	v_mul_f32_dpp v27, v66, v27 row_newbcast:11 row_mask:0xf bank_mask:0xf// 00000000341C: 0A3636FA FF015B42
	v_pk_mul_f32 v[28:29], v[64:65], v[28:29]                  // 000000003424: D3B1401C 18023940
	v_pk_mul_f32 v[30:31], v[64:65], v[30:31]                  // 00000000342C: D3B1401E 18023D40
	v_mul_f32_dpp v28, v66, v28 row_newbcast:12 row_mask:0xf bank_mask:0xf// 000000003434: 0A3838FA FF015C42
	v_mul_f32_dpp v29, v66, v29 row_newbcast:13 row_mask:0xf bank_mask:0xf// 00000000343C: 0A3A3AFA FF015D42
	v_mul_f32_dpp v30, v66, v30 row_newbcast:14 row_mask:0xf bank_mask:0xf// 000000003444: 0A3C3CFA FF015E42
	v_mul_f32_dpp v31, v66, v31 row_newbcast:15 row_mask:0xf bank_mask:0xf// 00000000344C: 0A3E3EFA FF015F42
	buffer_load_dwordx4 a[48:51], v110, s[12:15], 0 offen offset:2048// 000000003454: E05C1800 8083306E
	v_mov_b32_e32 v92, v16                                     // 00000000345C: 7EB80310
	v_max3_f32 v92, v16, v17, v92                              // 000000003460: D1D3005C 05722310
	v_max3_f32 v92, v18, v19, v92                              // 000000003468: D1D3005C 05722712
	v_max3_f32 v92, v20, v21, v92                              // 000000003470: D1D3005C 05722B14
	v_max3_f32 v92, v22, v23, v92                              // 000000003478: D1D3005C 05722F16
	v_max3_f32 v92, v24, v25, v92                              // 000000003480: D1D3005C 05723318
	v_max3_f32 v92, v26, v27, v92                              // 000000003488: D1D3005C 0572371A
	v_max3_f32 v92, v28, v29, v92                              // 000000003490: D1D3005C 05723B1C
	v_max3_f32 v92, v30, v31, v92                              // 000000003498: D1D3005C 05723F1E
	ds_write_b32 v128, v92                                     // 0000000034A0: D81A0000 00005C80
	v_pk_mul_f32 v[56:57], v[94:95], v[56:57]                  // 0000000034A8: D3B14038 1802715E
	v_pk_mul_f32 v[58:59], v[94:95], v[58:59]                  // 0000000034B0: D3B1403A 1802755E
	v_pk_mul_f32 v[60:61], v[94:95], v[60:61]                  // 0000000034B8: D3B1403C 1802795E
	v_pk_mul_f32 v[62:63], v[94:95], v[62:63]                  // 0000000034C0: D3B1403E 18027D5E
	buffer_load_dwordx4 a[52:55], v111, s[12:15], 0 offen offset:2048// 0000000034C8: E05C1800 8083346F
	s_waitcnt lgkmcnt(0)                                       // 0000000034D0: BF8CC07F
	s_barrier                                                  // 0000000034D4: BF8A0000
	ds_read_b32 v76, v129                                      // 0000000034D8: D86C0000 4C000081
	ds_read_b32 v77, v129 offset:64                            // 0000000034E0: D86C0040 4D000081
	ds_read_b32 v78, v129 offset:128                           // 0000000034E8: D86C0080 4E000081
	ds_read_b32 v79, v129 offset:192                           // 0000000034F0: D86C00C0 4F000081
	ds_read_b32 v80, v129 offset:256                           // 0000000034F8: D86C0100 50000081
	ds_read_b32 v81, v129 offset:320                           // 000000003500: D86C0140 51000081
	ds_read_b32 v82, v129 offset:384                           // 000000003508: D86C0180 52000081
	ds_read_b32 v83, v129 offset:448                           // 000000003510: D86C01C0 53000081
	ds_read_b32 v84, v129 offset:512                           // 000000003518: D86C0200 54000081
	ds_read_b32 v85, v129 offset:576                           // 000000003520: D86C0240 55000081
	ds_read_b32 v86, v129 offset:640                           // 000000003528: D86C0280 56000081
	ds_read_b32 v87, v129 offset:704                           // 000000003530: D86C02C0 57000081
	ds_read_b32 v88, v129 offset:768                           // 000000003538: D86C0300 58000081
	ds_read_b32 v89, v129 offset:832                           // 000000003540: D86C0340 59000081
	ds_read_b32 v90, v129 offset:896                           // 000000003548: D86C0380 5A000081
	ds_read_b32 v91, v129 offset:960                           // 000000003550: D86C03C0 5B000081
	buffer_load_dwordx4 a[60:63], v111, s[12:15], 0 offen offset:3072// 000000003558: E05C1C00 80833C6F
	v_pk_mul_f32 v[48:49], v[70:71], v[48:49]                  // 000000003560: D3B14030 18026146
	v_pk_mul_f32 v[50:51], v[70:71], v[50:51]                  // 000000003568: D3B14032 18026546
	v_pk_mul_f32 v[52:53], v[70:71], v[52:53]                  // 000000003570: D3B14034 18026946
	v_pk_mul_f32 v[54:55], v[70:71], v[54:55]                  // 000000003578: D3B14036 18026D46
	buffer_load_dwordx4 a[56:59], v110, s[12:15], 0 offen offset:3072// 000000003580: E05C1C00 8083386E
	s_waitcnt lgkmcnt(0)                                       // 000000003588: BF8CC07F
	v_max3_f32 v92, v76, v77, v92                              // 00000000358C: D1D3005C 05729B4C
	v_max3_f32 v92, v78, v79, v92                              // 000000003594: D1D3005C 05729F4E
	v_max3_f32 v92, v80, v81, v92                              // 00000000359C: D1D3005C 0572A350
	v_max3_f32 v92, v82, v83, v92                              // 0000000035A4: D1D3005C 0572A752
	v_max3_f32 v92, v84, v85, v92                              // 0000000035AC: D1D3005C 0572AB54
	v_max3_f32 v92, v86, v87, v92                              // 0000000035B4: D1D3005C 0572AF56
	v_max3_f32 v92, v88, v89, v92                              // 0000000035BC: D1D3005C 0572B358
	v_max3_f32 v92, v90, v91, v92                              // 0000000035C4: D1D3005C 0572B75A
	v_max_f32_e32 v97, v92, v96                                // 0000000035CC: 16C2C15C
	v_mul_f32_e64 v72, -s46, v97                               // 0000000035D0: D1050048 2002C22E
	v_mov_b32_e32 v73, v72                                     // 0000000035D8: 7E920348
	v_pk_fma_f32 v[16:17], v[16:17], s[46:47], v[72:73]        // 0000000035DC: D3B04010 1D205D10
	v_pk_fma_f32 v[18:19], v[18:19], s[46:47], v[72:73]        // 0000000035E4: D3B04012 1D205D12
	v_exp_f32_e32 v16, v16                                     // 0000000035EC: 7E204110
	v_exp_f32_e32 v17, v17                                     // 0000000035F0: 7E224111
	v_exp_f32_e32 v18, v18                                     // 0000000035F4: 7E244112
	v_exp_f32_e32 v19, v19                                     // 0000000035F8: 7E264113
	v_pk_fma_f32 v[20:21], v[20:21], s[46:47], v[72:73]        // 0000000035FC: D3B04014 1D205D14
	v_pk_fma_f32 v[22:23], v[22:23], s[46:47], v[72:73]        // 000000003604: D3B04016 1D205D16
	v_exp_f32_e32 v20, v20                                     // 00000000360C: 7E284114
	v_exp_f32_e32 v21, v21                                     // 000000003610: 7E2A4115
	v_exp_f32_e32 v22, v22                                     // 000000003614: 7E2C4116
	v_exp_f32_e32 v23, v23                                     // 000000003618: 7E2E4117
	v_pk_fma_f32 v[24:25], v[24:25], s[46:47], v[72:73]        // 00000000361C: D3B04018 1D205D18
	v_pk_fma_f32 v[26:27], v[26:27], s[46:47], v[72:73]        // 000000003624: D3B0401A 1D205D1A
	v_exp_f32_e32 v24, v24                                     // 00000000362C: 7E304118
	v_exp_f32_e32 v25, v25                                     // 000000003630: 7E324119
	v_exp_f32_e32 v26, v26                                     // 000000003634: 7E34411A
	v_exp_f32_e32 v27, v27                                     // 000000003638: 7E36411B
	v_pk_fma_f32 v[28:29], v[28:29], s[46:47], v[72:73]        // 00000000363C: D3B0401C 1D205D1C
	v_pk_fma_f32 v[30:31], v[30:31], s[46:47], v[72:73]        // 000000003644: D3B0401E 1D205D1E
	v_exp_f32_e32 v28, v28                                     // 00000000364C: 7E38411C
	v_exp_f32_e32 v29, v29                                     // 000000003650: 7E3A411D
	v_exp_f32_e32 v30, v30                                     // 000000003654: 7E3C411E
	v_exp_f32_e32 v31, v31                                     // 000000003658: 7E3E411F
	v_mul_f32_dpp v32, v68, v16 row_newbcast:0 row_mask:0xf bank_mask:0xf// 00000000365C: 0A4020FA FF015044
	v_mul_f32_dpp v33, v68, v17 row_newbcast:1 row_mask:0xf bank_mask:0xf// 000000003664: 0A4222FA FF015144
	v_mul_f32_dpp v34, v68, v18 row_newbcast:2 row_mask:0xf bank_mask:0xf// 00000000366C: 0A4424FA FF015244
	v_mul_f32_dpp v35, v68, v19 row_newbcast:3 row_mask:0xf bank_mask:0xf// 000000003674: 0A4626FA FF015344
	v_mul_f32_dpp v36, v68, v20 row_newbcast:4 row_mask:0xf bank_mask:0xf// 00000000367C: 0A4828FA FF015444
	v_mul_f32_dpp v37, v68, v21 row_newbcast:5 row_mask:0xf bank_mask:0xf// 000000003684: 0A4A2AFA FF015544
	v_mul_f32_dpp v38, v68, v22 row_newbcast:6 row_mask:0xf bank_mask:0xf// 00000000368C: 0A4C2CFA FF015644
	v_mul_f32_dpp v39, v68, v23 row_newbcast:7 row_mask:0xf bank_mask:0xf// 000000003694: 0A4E2EFA FF015744
	v_mul_f32_dpp v40, v68, v24 row_newbcast:8 row_mask:0xf bank_mask:0xf// 00000000369C: 0A5030FA FF015844
	v_mul_f32_dpp v41, v68, v25 row_newbcast:9 row_mask:0xf bank_mask:0xf// 0000000036A4: 0A5232FA FF015944
	v_mul_f32_dpp v42, v68, v26 row_newbcast:10 row_mask:0xf bank_mask:0xf// 0000000036AC: 0A5434FA FF015A44
	v_mul_f32_dpp v43, v68, v27 row_newbcast:11 row_mask:0xf bank_mask:0xf// 0000000036B4: 0A5636FA FF015B44
	v_mul_f32_dpp v44, v68, v28 row_newbcast:12 row_mask:0xf bank_mask:0xf// 0000000036BC: 0A5838FA FF015C44
	v_mul_f32_dpp v45, v68, v29 row_newbcast:13 row_mask:0xf bank_mask:0xf// 0000000036C4: 0A5A3AFA FF015D44
	v_mul_f32_dpp v46, v68, v30 row_newbcast:14 row_mask:0xf bank_mask:0xf// 0000000036CC: 0A5C3CFA FF015E44
	v_mul_f32_dpp v47, v68, v31 row_newbcast:15 row_mask:0xf bank_mask:0xf// 0000000036D4: 0A5E3EFA FF015F44
	v_mov_b32_e32 v92, 0x358637bd                              // 0000000036DC: 7EB802FF 358637BD
	v_max3_f32 v92, |v32|, |v33|, v92                          // 0000000036E4: D1D3035C 05724320
	v_max3_f32 v92, |v34|, |v35|, v92                          // 0000000036EC: D1D3035C 05724722
	v_max3_f32 v92, |v36|, |v37|, v92                          // 0000000036F4: D1D3035C 05724B24
	v_max3_f32 v92, |v38|, |v39|, v92                          // 0000000036FC: D1D3035C 05724F26
	v_max3_f32 v92, |v40|, |v41|, v92                          // 000000003704: D1D3035C 05725328
	v_max3_f32 v92, |v42|, |v43|, v92                          // 00000000370C: D1D3035C 0572572A
	v_max3_f32 v92, |v44|, |v45|, v92                          // 000000003714: D1D3035C 05725B2C
	v_max3_f32 v92, |v46|, |v47|, v92                          // 00000000371C: D1D3035C 05725F2E
	ds_write_b32 v128, v92 offset:1280                         // 000000003724: D81A0500 00005C80
	buffer_load_dword v67, v116, s[20:23], 0 offen             // 00000000372C: E0501000 80054374
	v_sub_f32_e32 v94, v96, v97                                // 000000003734: 04BCC360
	v_cmp_eq_u32_e64 s[98:99], v107, v96                       // 000000003738: D0CA0062 0002C16B
	s_nop 0                                                    // 000000003740: BF800000
	v_cndmask_b32_e64 v94, v94, 0, s[98:99]                    // 000000003744: D100005E 0189015E
	v_mov_b32_e32 v96, v97                                     // 00000000374C: 7EC00361
	v_mul_f32_e32 v94, s46, v94                                // 000000003750: 0ABCBC2E
	v_exp_f32_e32 v94, v94                                     // 000000003754: 7EBC415E
	s_nop 0                                                    // 000000003758: BF800000
	v_mov_b32_e32 v95, v94                                     // 00000000375C: 7EBE035E
	buffer_load_dword v69, v117, s[24:27], 0 offen             // 000000003760: E0501000 80064575
	s_waitcnt lgkmcnt(0)                                       // 000000003768: BF8CC07F
	s_barrier                                                  // 00000000376C: BF8A0000
	ds_read_b32 v76, v129 offset:1280                          // 000000003770: D86C0500 4C000081
	ds_read_b32 v77, v129 offset:1344                          // 000000003778: D86C0540 4D000081
	ds_read_b32 v78, v129 offset:1408                          // 000000003780: D86C0580 4E000081
	ds_read_b32 v79, v129 offset:1472                          // 000000003788: D86C05C0 4F000081
	ds_read_b32 v80, v129 offset:1536                          // 000000003790: D86C0600 50000081
	ds_read_b32 v81, v129 offset:1600                          // 000000003798: D86C0640 51000081
	ds_read_b32 v82, v129 offset:1664                          // 0000000037A0: D86C0680 52000081
	ds_read_b32 v83, v129 offset:1728                          // 0000000037A8: D86C06C0 53000081
	ds_read_b32 v84, v129 offset:1792                          // 0000000037B0: D86C0700 54000081
	ds_read_b32 v85, v129 offset:1856                          // 0000000037B8: D86C0740 55000081
	ds_read_b32 v86, v129 offset:1920                          // 0000000037C0: D86C0780 56000081
	ds_read_b32 v87, v129 offset:1984                          // 0000000037C8: D86C07C0 57000081
	ds_read_b32 v88, v129 offset:2048                          // 0000000037D0: D86C0800 58000081
	ds_read_b32 v89, v129 offset:2112                          // 0000000037D8: D86C0840 59000081
	ds_read_b32 v90, v129 offset:2176                          // 0000000037E0: D86C0880 5A000081
	ds_read_b32 v91, v129 offset:2240                          // 0000000037E8: D86C08C0 5B000081
	buffer_load_dwordx4 a[96:99], v112, s[16:19], 0 offen      // 0000000037F0: E05C1000 80846070
	v_mul_f32_e32 v98, v94, v98                                // 0000000037F8: 0AC4C55E
	v_add_f32_e32 v98, v16, v98                                // 0000000037FC: 02C4C510
	v_add_f32_e32 v98, v17, v98                                // 000000003800: 02C4C511
	v_add_f32_e32 v98, v18, v98                                // 000000003804: 02C4C512
	v_add_f32_e32 v98, v19, v98                                // 000000003808: 02C4C513
	v_add_f32_e32 v98, v20, v98                                // 00000000380C: 02C4C514
	v_add_f32_e32 v98, v21, v98                                // 000000003810: 02C4C515
	v_add_f32_e32 v98, v22, v98                                // 000000003814: 02C4C516
	v_add_f32_e32 v98, v23, v98                                // 000000003818: 02C4C517
	v_add_f32_e32 v98, v24, v98                                // 00000000381C: 02C4C518
	v_add_f32_e32 v98, v25, v98                                // 000000003820: 02C4C519
	v_add_f32_e32 v98, v26, v98                                // 000000003824: 02C4C51A
	v_add_f32_e32 v98, v27, v98                                // 000000003828: 02C4C51B
	v_add_f32_e32 v98, v28, v98                                // 00000000382C: 02C4C51C
	v_add_f32_e32 v98, v29, v98                                // 000000003830: 02C4C51D
	v_add_f32_e32 v98, v30, v98                                // 000000003834: 02C4C51E
	v_add_f32_e32 v98, v31, v98                                // 000000003838: 02C4C51F
	buffer_load_dwordx4 a[100:103], v113, s[16:19], 0 offen    // 00000000383C: E05C1000 80846471
	s_waitcnt lgkmcnt(0)                                       // 000000003844: BF8CC07F
	v_max3_f32 v92, v76, v77, v92                              // 000000003848: D1D3005C 05729B4C
	v_max3_f32 v92, v78, v79, v92                              // 000000003850: D1D3005C 05729F4E
	v_max3_f32 v92, v80, v81, v92                              // 000000003858: D1D3005C 0572A350
	v_max3_f32 v92, v82, v83, v92                              // 000000003860: D1D3005C 0572A752
	v_max3_f32 v92, v84, v85, v92                              // 000000003868: D1D3005C 0572AB54
	v_max3_f32 v92, v86, v87, v92                              // 000000003870: D1D3005C 0572AF56
	v_max3_f32 v92, v88, v89, v92                              // 000000003878: D1D3005C 0572B358
	v_max3_f32 v92, v90, v91, v92                              // 000000003880: D1D3005C 0572B75A
	v_rcp_f32_e32 v92, v92                                     // 000000003888: 7EB8455C
	s_nop 0                                                    // 00000000388C: BF800000
	v_mul_f32_e32 v92, 0x43700000, v92                         // 000000003890: 0AB8B8FF 43700000
	v_mov_b32_e32 v93, v92                                     // 000000003898: 7EBA035C
	v_pk_mul_f32 v[16:17], v[92:93], v[32:33]                  // 00000000389C: D3B14010 1802415C
	v_pk_mul_f32 v[18:19], v[92:93], v[34:35]                  // 0000000038A4: D3B14012 1802455C
	v_pk_mul_f32 v[20:21], v[92:93], v[36:37]                  // 0000000038AC: D3B14014 1802495C
	v_pk_mul_f32 v[22:23], v[92:93], v[38:39]                  // 0000000038B4: D3B14016 18024D5C
	v_pk_mul_f32 v[24:25], v[92:93], v[40:41]                  // 0000000038BC: D3B14018 1802515C
	v_pk_mul_f32 v[26:27], v[92:93], v[42:43]                  // 0000000038C4: D3B1401A 1802555C
	v_pk_mul_f32 v[28:29], v[92:93], v[44:45]                  // 0000000038CC: D3B1401C 1802595C
	v_pk_mul_f32 v[30:31], v[92:93], v[46:47]                  // 0000000038D4: D3B1401E 18025D5C
	v_cvt_pk_fp8_f32 v16, v16, v17                             // 0000000038DC: D2A20010 00022310
	v_cvt_pk_fp8_f32 v16, v18, v19 op_sel:[0,0,1]              // 0000000038E4: D2A24010 00022712
	v_cvt_pk_fp8_f32 v17, v20, v21                             // 0000000038EC: D2A20011 00022B14
	v_cvt_pk_fp8_f32 v17, v22, v23 op_sel:[0,0,1]              // 0000000038F4: D2A24011 00022F16
	v_cvt_pk_fp8_f32 v18, v24, v25                             // 0000000038FC: D2A20012 00023318
	v_cvt_pk_fp8_f32 v18, v26, v27 op_sel:[0,0,1]              // 000000003904: D2A24012 0002371A
	v_cvt_pk_fp8_f32 v19, v28, v29                             // 00000000390C: D2A20013 00023B1C
	v_cvt_pk_fp8_f32 v19, v30, v31 op_sel:[0,0,1]              // 000000003914: D2A24013 00023F1E
	ds_write_b32 v130, v16 offset:2560                         // 00000000391C: D81A0A00 00001082
	ds_write_b32 v130, v17 offset:3584                         // 000000003924: D81A0E00 00001182
	ds_write_b32 v130, v18 offset:4608                         // 00000000392C: D81A1200 00001282
	ds_write_b32 v130, v19 offset:5632                         // 000000003934: D81A1600 00001382
	v_rcp_f32_e32 v70, v92                                     // 00000000393C: 7E8C455C
	s_nop 0                                                    // 000000003940: BF800000
	v_mov_b32_e32 v71, v70                                     // 000000003944: 7E8E0346
	buffer_load_dwordx4 a[104:107], v114, s[16:19], 0 offen    // 000000003948: E05C1000 80846872
	v_pk_add_f32 v[56:57], v[56:57], v[48:49]                  // 000000003950: D3B24038 18026138
	v_pk_add_f32 v[58:59], v[58:59], v[50:51]                  // 000000003958: D3B2403A 1802653A
	v_pk_add_f32 v[60:61], v[60:61], v[52:53]                  // 000000003960: D3B2403C 1802693C
	v_pk_add_f32 v[62:63], v[62:63], v[54:55]                  // 000000003968: D3B2403E 18026D3E
	s_waitcnt lgkmcnt(0)                                       // 000000003970: BF8CC07F
	s_barrier                                                  // 000000003974: BF8A0000
	ds_read_b128 v[16:19], v131 offset:2560                    // 000000003978: D9FE0A00 10000083
	ds_read_b128 v[20:23], v131 offset:3584                    // 000000003980: D9FE0E00 14000083
	ds_read_b128 v[24:27], v131 offset:4608                    // 000000003988: D9FE1200 18000083
	ds_read_b128 v[28:31], v131 offset:5632                    // 000000003990: D9FE1600 1C000083
	buffer_load_dwordx4 a[108:111], v115, s[16:19], 0 offen    // 000000003998: E05C1000 80846C73
	s_waitcnt vmcnt(14)                                        // 0000000039A0: BF8C0F7E
	s_waitcnt lgkmcnt(3)                                       // 0000000039A4: BF8CC37F
	v_mfma_f32_16x16x32_fp8_fp8 v[48:51], a[64:65], v[16:17], 0// 0000000039A8: D3F30030 0A022140
	s_lshl_b32 s68, s76, 2                                     // 0000000039B0: 8E44824C
	v_mfma_f32_16x16x32_fp8_fp8 v[52:55], a[80:81], v[16:17], 0// 0000000039B4: D3F30034 0A022150
	s_cmp_lt_u32 s76, s77                                      // 0000000039BC: BF0A4D4C
	s_cselect_b32 s68, s68, 0                                  // 0000000039C0: 85448044
	v_mfma_f32_16x16x32_fp8_fp8 v[48:51], a[66:67], v[18:19], v[48:51]// 0000000039C4: D3F30030 0CC22542
	buffer_load_dwordx4 a[112:115], v112, s[16:19], 0 offen offset:1024// 0000000039CC: E05C1400 80847070
	v_mfma_f32_16x16x32_fp8_fp8 v[52:55], a[82:83], v[18:19], v[52:55]// 0000000039D4: D3F30034 0CD22552
	s_addk_i32 s76, 0x1                                        // 0000000039DC: B74C0001
	s_waitcnt lgkmcnt(2)                                       // 0000000039E0: BF8CC27F
	v_mfma_f32_16x16x32_fp8_fp8 v[48:51], a[68:69], v[20:21], v[48:51]// 0000000039E4: D3F30030 0CC22944
	v_mfma_f32_16x16x32_fp8_fp8 v[52:55], a[84:85], v[20:21], v[52:55]// 0000000039EC: D3F30034 0CD22954
	v_mfma_f32_16x16x32_fp8_fp8 v[48:51], a[70:71], v[22:23], v[48:51]// 0000000039F4: D3F30030 0CC22D46
	buffer_load_dwordx4 a[116:119], v113, s[16:19], 0 offen offset:1024// 0000000039FC: E05C1400 80847471
	v_mfma_f32_16x16x32_fp8_fp8 v[52:55], a[86:87], v[22:23], v[52:55]// 000000003A04: D3F30034 0CD22D56
	s_waitcnt lgkmcnt(1)                                       // 000000003A0C: BF8CC17F
	v_mfma_f32_16x16x32_fp8_fp8 v[48:51], a[72:73], v[24:25], v[48:51]// 000000003A10: D3F30030 0CC23148
	v_mfma_f32_16x16x32_fp8_fp8 v[52:55], a[88:89], v[24:25], v[52:55]// 000000003A18: D3F30034 0CD23158
	v_mfma_f32_16x16x32_fp8_fp8 v[48:51], a[74:75], v[26:27], v[48:51]// 000000003A20: D3F30030 0CC2354A
	buffer_load_dwordx4 a[120:123], v114, s[16:19], 0 offen offset:1024// 000000003A28: E05C1400 80847872
	v_mfma_f32_16x16x32_fp8_fp8 v[52:55], a[90:91], v[26:27], v[52:55]// 000000003A30: D3F30034 0CD2355A
	s_waitcnt lgkmcnt(0)                                       // 000000003A38: BF8CC07F
	v_mfma_f32_16x16x32_fp8_fp8 v[48:51], a[76:77], v[28:29], v[48:51]// 000000003A3C: D3F30030 0CC2394C
	v_mfma_f32_16x16x32_fp8_fp8 v[52:55], a[92:93], v[28:29], v[52:55]// 000000003A44: D3F30034 0CD2395C
	v_mfma_f32_16x16x32_fp8_fp8 v[48:51], a[78:79], v[30:31], v[48:51]// 000000003A4C: D3F30030 0CC23D4E
	buffer_load_dwordx4 a[124:127], v115, s[16:19], 0 offen offset:1024// 000000003A54: E05C1400 80847C73
	v_mfma_f32_16x16x32_fp8_fp8 v[52:55], a[94:95], v[30:31], v[52:55]// 000000003A5C: D3F30034 0CD23D5E
	s_load_dword s59, s[42:43], s68                            // 000000003A64: C0000ED5 00000044
	s_addk_i32 s64, 0x100                                      // 000000003A6C: B7400100
	s_cmp_lt_i32 s64, s63                                      // 000000003A70: BF043F40
	s_cbranch_scc0 label_160D                                  // 000000003A74: BF84116F
	s_waitcnt vmcnt(10)                                        // 000000003A78: BF8C0F7A
	v_mfma_f32_16x16x32_fp8_fp8 v[16:19], a[32:33], v[8:9], 0  // 000000003A7C: D3F30010 0A021120
	s_add_u32 s12, s86, s69                                    // 000000003A84: 800C4556
	s_addc_u32 s13, s87, 0                                     // 000000003A88: 820D8057
	v_mfma_f32_16x16x32_fp8_fp8 v[16:19], a[34:35], v[10:11], v[16:19]// 000000003A8C: D3F30010 0C421522
	s_add_u32 s16, s88, s70                                    // 000000003A94: 80104658
	s_addc_u32 s17, s89, 0                                     // 000000003A98: 82118059
	v_mfma_f32_16x16x32_fp8_fp8 v[16:19], a[36:37], v[12:13], v[16:19]// 000000003A9C: D3F30010 0C421924
	buffer_load_dwordx4 a[0:3], v110, s[12:15], 0 offen        // 000000003AA4: E05C1000 8083006E
	v_mfma_f32_16x16x32_fp8_fp8 v[16:19], a[38:39], v[14:15], v[16:19]// 000000003AAC: D3F30010 0C421D26
	s_add_u32 s20, s90, s71                                    // 000000003AB4: 8014475A
	s_addc_u32 s21, s91, 0                                     // 000000003AB8: 8215805B
	v_mfma_f32_16x16x32_fp8_fp8 v[20:23], a[40:41], v[8:9], 0  // 000000003ABC: D3F30014 0A021128
	s_add_u32 s24, s92, s71                                    // 000000003AC4: 8018475C
	s_addc_u32 s25, s93, 0                                     // 000000003AC8: 8219805D
	v_mfma_f32_16x16x32_fp8_fp8 v[20:23], a[42:43], v[10:11], v[20:23]// 000000003ACC: D3F30014 0C52152A
	s_add_u32 s69, s69, 0x1000                                 // 000000003AD4: 8045FF45 00001000
	s_add_u32 s70, s70, 0x8000                                 // 000000003ADC: 8046FF46 00008000
	v_mfma_f32_16x16x32_fp8_fp8 v[20:23], a[44:45], v[12:13], v[20:23]// 000000003AE4: D3F30014 0C52192C
	buffer_load_dwordx4 a[4:7], v111, s[12:15], 0 offen        // 000000003AEC: E05C1000 8083046F
	v_mfma_f32_16x16x32_fp8_fp8 v[20:23], a[46:47], v[14:15], v[20:23]// 000000003AF4: D3F30014 0C521D2E
	s_add_u32 s71, s71, 0x400                                  // 000000003AFC: 8047FF47 00000400
	v_mfma_f32_16x16x32_fp8_fp8 v[24:27], a[48:49], v[8:9], 0  // 000000003B04: D3F30018 0A021130
	v_mfma_f32_16x16x32_fp8_fp8 v[24:27], a[50:51], v[10:11], v[24:27]// 000000003B0C: D3F30018 0C621532
	v_mfma_f32_16x16x32_fp8_fp8 v[24:27], a[52:53], v[12:13], v[24:27]// 000000003B14: D3F30018 0C621934
	buffer_load_dwordx4 a[8:11], v110, s[12:15], 0 offen offset:1024// 000000003B1C: E05C1400 8083086E
	v_mfma_f32_16x16x32_fp8_fp8 v[24:27], a[54:55], v[14:15], v[24:27]// 000000003B24: D3F30018 0C621D36
	v_mfma_f32_16x16x32_fp8_fp8 v[28:31], a[56:57], v[8:9], 0  // 000000003B2C: D3F3001C 0A021138
	v_mfma_f32_16x16x32_fp8_fp8 v[28:31], a[58:59], v[10:11], v[28:31]// 000000003B34: D3F3001C 0C72153A
	v_mfma_f32_16x16x32_fp8_fp8 v[28:31], a[60:61], v[12:13], v[28:31]// 000000003B3C: D3F3001C 0C72193C
	buffer_load_dwordx4 a[12:15], v111, s[12:15], 0 offen offset:1024// 000000003B44: E05C1400 80830C6F
	v_mfma_f32_16x16x32_fp8_fp8 v[28:31], a[62:63], v[14:15], v[28:31]// 000000003B4C: D3F3001C 0C721D3E
	s_waitcnt vmcnt(12)                                        // 000000003B54: BF8C0F7C
	v_pk_mul_f32 v[16:17], v[64:65], v[16:17]                  // 000000003B58: D3B14010 18022140
	v_pk_mul_f32 v[18:19], v[64:65], v[18:19]                  // 000000003B60: D3B14012 18022540
	v_mul_f32_dpp v16, v67, v16 row_newbcast:0 row_mask:0xf bank_mask:0xf// 000000003B68: 0A2020FA FF015043
	v_mul_f32_dpp v17, v67, v17 row_newbcast:1 row_mask:0xf bank_mask:0xf// 000000003B70: 0A2222FA FF015143
	v_mul_f32_dpp v18, v67, v18 row_newbcast:2 row_mask:0xf bank_mask:0xf// 000000003B78: 0A2424FA FF015243
	v_mul_f32_dpp v19, v67, v19 row_newbcast:3 row_mask:0xf bank_mask:0xf// 000000003B80: 0A2626FA FF015343
	v_pk_mul_f32 v[20:21], v[64:65], v[20:21]                  // 000000003B88: D3B14014 18022940
	v_pk_mul_f32 v[22:23], v[64:65], v[22:23]                  // 000000003B90: D3B14016 18022D40
	v_mul_f32_dpp v20, v67, v20 row_newbcast:4 row_mask:0xf bank_mask:0xf// 000000003B98: 0A2828FA FF015443
	v_mul_f32_dpp v21, v67, v21 row_newbcast:5 row_mask:0xf bank_mask:0xf// 000000003BA0: 0A2A2AFA FF015543
	v_mul_f32_dpp v22, v67, v22 row_newbcast:6 row_mask:0xf bank_mask:0xf// 000000003BA8: 0A2C2CFA FF015643
	v_mul_f32_dpp v23, v67, v23 row_newbcast:7 row_mask:0xf bank_mask:0xf// 000000003BB0: 0A2E2EFA FF015743
	v_pk_mul_f32 v[24:25], v[64:65], v[24:25]                  // 000000003BB8: D3B14018 18023140
	v_pk_mul_f32 v[26:27], v[64:65], v[26:27]                  // 000000003BC0: D3B1401A 18023540
	v_mul_f32_dpp v24, v67, v24 row_newbcast:8 row_mask:0xf bank_mask:0xf// 000000003BC8: 0A3030FA FF015843
	v_mul_f32_dpp v25, v67, v25 row_newbcast:9 row_mask:0xf bank_mask:0xf// 000000003BD0: 0A3232FA FF015943
	v_mul_f32_dpp v26, v67, v26 row_newbcast:10 row_mask:0xf bank_mask:0xf// 000000003BD8: 0A3434FA FF015A43
	v_mul_f32_dpp v27, v67, v27 row_newbcast:11 row_mask:0xf bank_mask:0xf// 000000003BE0: 0A3636FA FF015B43
	v_pk_mul_f32 v[28:29], v[64:65], v[28:29]                  // 000000003BE8: D3B1401C 18023940
	v_pk_mul_f32 v[30:31], v[64:65], v[30:31]                  // 000000003BF0: D3B1401E 18023D40
	v_mul_f32_dpp v28, v67, v28 row_newbcast:12 row_mask:0xf bank_mask:0xf// 000000003BF8: 0A3838FA FF015C43
	v_mul_f32_dpp v29, v67, v29 row_newbcast:13 row_mask:0xf bank_mask:0xf// 000000003C00: 0A3A3AFA FF015D43
	v_mul_f32_dpp v30, v67, v30 row_newbcast:14 row_mask:0xf bank_mask:0xf// 000000003C08: 0A3C3CFA FF015E43
	v_mul_f32_dpp v31, v67, v31 row_newbcast:15 row_mask:0xf bank_mask:0xf// 000000003C10: 0A3E3EFA FF015F43
	buffer_load_dwordx4 a[16:19], v110, s[12:15], 0 offen offset:2048// 000000003C18: E05C1800 8083106E
	v_mov_b32_e32 v92, v16                                     // 000000003C20: 7EB80310
	v_max3_f32 v92, v16, v17, v92                              // 000000003C24: D1D3005C 05722310
	v_max3_f32 v92, v18, v19, v92                              // 000000003C2C: D1D3005C 05722712
	v_max3_f32 v92, v20, v21, v92                              // 000000003C34: D1D3005C 05722B14
	v_max3_f32 v92, v22, v23, v92                              // 000000003C3C: D1D3005C 05722F16
	v_max3_f32 v92, v24, v25, v92                              // 000000003C44: D1D3005C 05723318
	v_max3_f32 v92, v26, v27, v92                              // 000000003C4C: D1D3005C 0572371A
	v_max3_f32 v92, v28, v29, v92                              // 000000003C54: D1D3005C 05723B1C
	v_max3_f32 v92, v30, v31, v92                              // 000000003C5C: D1D3005C 05723F1E
	ds_write_b32 v128, v92                                     // 000000003C64: D81A0000 00005C80
	v_pk_mul_f32 v[56:57], v[94:95], v[56:57]                  // 000000003C6C: D3B14038 1802715E
	v_pk_mul_f32 v[58:59], v[94:95], v[58:59]                  // 000000003C74: D3B1403A 1802755E
	v_pk_mul_f32 v[60:61], v[94:95], v[60:61]                  // 000000003C7C: D3B1403C 1802795E
	v_pk_mul_f32 v[62:63], v[94:95], v[62:63]                  // 000000003C84: D3B1403E 18027D5E
	buffer_load_dwordx4 a[20:23], v111, s[12:15], 0 offen offset:2048// 000000003C8C: E05C1800 8083146F
	s_waitcnt lgkmcnt(0)                                       // 000000003C94: BF8CC07F
	s_barrier                                                  // 000000003C98: BF8A0000
	ds_read_b32 v76, v129                                      // 000000003C9C: D86C0000 4C000081
	ds_read_b32 v77, v129 offset:64                            // 000000003CA4: D86C0040 4D000081
	ds_read_b32 v78, v129 offset:128                           // 000000003CAC: D86C0080 4E000081
	ds_read_b32 v79, v129 offset:192                           // 000000003CB4: D86C00C0 4F000081
	ds_read_b32 v80, v129 offset:256                           // 000000003CBC: D86C0100 50000081
	ds_read_b32 v81, v129 offset:320                           // 000000003CC4: D86C0140 51000081
	ds_read_b32 v82, v129 offset:384                           // 000000003CCC: D86C0180 52000081
	ds_read_b32 v83, v129 offset:448                           // 000000003CD4: D86C01C0 53000081
	ds_read_b32 v84, v129 offset:512                           // 000000003CDC: D86C0200 54000081
	ds_read_b32 v85, v129 offset:576                           // 000000003CE4: D86C0240 55000081
	ds_read_b32 v86, v129 offset:640                           // 000000003CEC: D86C0280 56000081
	ds_read_b32 v87, v129 offset:704                           // 000000003CF4: D86C02C0 57000081
	ds_read_b32 v88, v129 offset:768                           // 000000003CFC: D86C0300 58000081
	ds_read_b32 v89, v129 offset:832                           // 000000003D04: D86C0340 59000081
	ds_read_b32 v90, v129 offset:896                           // 000000003D0C: D86C0380 5A000081
	ds_read_b32 v91, v129 offset:960                           // 000000003D14: D86C03C0 5B000081
	buffer_load_dwordx4 a[28:31], v111, s[12:15], 0 offen offset:3072// 000000003D1C: E05C1C00 80831C6F
	v_pk_mul_f32 v[48:49], v[70:71], v[48:49]                  // 000000003D24: D3B14030 18026146
	v_pk_mul_f32 v[50:51], v[70:71], v[50:51]                  // 000000003D2C: D3B14032 18026546
	v_pk_mul_f32 v[52:53], v[70:71], v[52:53]                  // 000000003D34: D3B14034 18026946
	v_pk_mul_f32 v[54:55], v[70:71], v[54:55]                  // 000000003D3C: D3B14036 18026D46
	buffer_load_dwordx4 a[24:27], v110, s[12:15], 0 offen offset:3072// 000000003D44: E05C1C00 8083186E
	s_waitcnt lgkmcnt(0)                                       // 000000003D4C: BF8CC07F
	v_max3_f32 v92, v76, v77, v92                              // 000000003D50: D1D3005C 05729B4C
	v_max3_f32 v92, v78, v79, v92                              // 000000003D58: D1D3005C 05729F4E
	v_max3_f32 v92, v80, v81, v92                              // 000000003D60: D1D3005C 0572A350
	v_max3_f32 v92, v82, v83, v92                              // 000000003D68: D1D3005C 0572A752
	v_max3_f32 v92, v84, v85, v92                              // 000000003D70: D1D3005C 0572AB54
	v_max3_f32 v92, v86, v87, v92                              // 000000003D78: D1D3005C 0572AF56
	v_max3_f32 v92, v88, v89, v92                              // 000000003D80: D1D3005C 0572B358
	v_max3_f32 v92, v90, v91, v92                              // 000000003D88: D1D3005C 0572B75A
	v_max_f32_e32 v97, v92, v96                                // 000000003D90: 16C2C15C
	v_mul_f32_e64 v72, -s46, v97                               // 000000003D94: D1050048 2002C22E
	v_mov_b32_e32 v73, v72                                     // 000000003D9C: 7E920348
	v_pk_fma_f32 v[16:17], v[16:17], s[46:47], v[72:73]        // 000000003DA0: D3B04010 1D205D10
	v_pk_fma_f32 v[18:19], v[18:19], s[46:47], v[72:73]        // 000000003DA8: D3B04012 1D205D12
	v_exp_f32_e32 v16, v16                                     // 000000003DB0: 7E204110
	v_exp_f32_e32 v17, v17                                     // 000000003DB4: 7E224111
	v_exp_f32_e32 v18, v18                                     // 000000003DB8: 7E244112
	v_exp_f32_e32 v19, v19                                     // 000000003DBC: 7E264113
	v_pk_fma_f32 v[20:21], v[20:21], s[46:47], v[72:73]        // 000000003DC0: D3B04014 1D205D14
	v_pk_fma_f32 v[22:23], v[22:23], s[46:47], v[72:73]        // 000000003DC8: D3B04016 1D205D16
	v_exp_f32_e32 v20, v20                                     // 000000003DD0: 7E284114
	v_exp_f32_e32 v21, v21                                     // 000000003DD4: 7E2A4115
	v_exp_f32_e32 v22, v22                                     // 000000003DD8: 7E2C4116
	v_exp_f32_e32 v23, v23                                     // 000000003DDC: 7E2E4117
	v_pk_fma_f32 v[24:25], v[24:25], s[46:47], v[72:73]        // 000000003DE0: D3B04018 1D205D18
	v_pk_fma_f32 v[26:27], v[26:27], s[46:47], v[72:73]        // 000000003DE8: D3B0401A 1D205D1A
	v_exp_f32_e32 v24, v24                                     // 000000003DF0: 7E304118
	v_exp_f32_e32 v25, v25                                     // 000000003DF4: 7E324119
	v_exp_f32_e32 v26, v26                                     // 000000003DF8: 7E34411A
	v_exp_f32_e32 v27, v27                                     // 000000003DFC: 7E36411B
	v_pk_fma_f32 v[28:29], v[28:29], s[46:47], v[72:73]        // 000000003E00: D3B0401C 1D205D1C
	v_pk_fma_f32 v[30:31], v[30:31], s[46:47], v[72:73]        // 000000003E08: D3B0401E 1D205D1E
	v_exp_f32_e32 v28, v28                                     // 000000003E10: 7E38411C
	v_exp_f32_e32 v29, v29                                     // 000000003E14: 7E3A411D
	v_exp_f32_e32 v30, v30                                     // 000000003E18: 7E3C411E
	v_exp_f32_e32 v31, v31                                     // 000000003E1C: 7E3E411F
	v_mul_f32_dpp v32, v69, v16 row_newbcast:0 row_mask:0xf bank_mask:0xf// 000000003E20: 0A4020FA FF015045
	v_mul_f32_dpp v33, v69, v17 row_newbcast:1 row_mask:0xf bank_mask:0xf// 000000003E28: 0A4222FA FF015145
	v_mul_f32_dpp v34, v69, v18 row_newbcast:2 row_mask:0xf bank_mask:0xf// 000000003E30: 0A4424FA FF015245
	v_mul_f32_dpp v35, v69, v19 row_newbcast:3 row_mask:0xf bank_mask:0xf// 000000003E38: 0A4626FA FF015345
	v_mul_f32_dpp v36, v69, v20 row_newbcast:4 row_mask:0xf bank_mask:0xf// 000000003E40: 0A4828FA FF015445
	v_mul_f32_dpp v37, v69, v21 row_newbcast:5 row_mask:0xf bank_mask:0xf// 000000003E48: 0A4A2AFA FF015545
	v_mul_f32_dpp v38, v69, v22 row_newbcast:6 row_mask:0xf bank_mask:0xf// 000000003E50: 0A4C2CFA FF015645
	v_mul_f32_dpp v39, v69, v23 row_newbcast:7 row_mask:0xf bank_mask:0xf// 000000003E58: 0A4E2EFA FF015745
	v_mul_f32_dpp v40, v69, v24 row_newbcast:8 row_mask:0xf bank_mask:0xf// 000000003E60: 0A5030FA FF015845
	v_mul_f32_dpp v41, v69, v25 row_newbcast:9 row_mask:0xf bank_mask:0xf// 000000003E68: 0A5232FA FF015945
	v_mul_f32_dpp v42, v69, v26 row_newbcast:10 row_mask:0xf bank_mask:0xf// 000000003E70: 0A5434FA FF015A45
	v_mul_f32_dpp v43, v69, v27 row_newbcast:11 row_mask:0xf bank_mask:0xf// 000000003E78: 0A5636FA FF015B45
	v_mul_f32_dpp v44, v69, v28 row_newbcast:12 row_mask:0xf bank_mask:0xf// 000000003E80: 0A5838FA FF015C45
	v_mul_f32_dpp v45, v69, v29 row_newbcast:13 row_mask:0xf bank_mask:0xf// 000000003E88: 0A5A3AFA FF015D45
	v_mul_f32_dpp v46, v69, v30 row_newbcast:14 row_mask:0xf bank_mask:0xf// 000000003E90: 0A5C3CFA FF015E45
	v_mul_f32_dpp v47, v69, v31 row_newbcast:15 row_mask:0xf bank_mask:0xf// 000000003E98: 0A5E3EFA FF015F45
	v_mov_b32_e32 v92, 0x358637bd                              // 000000003EA0: 7EB802FF 358637BD
	v_max3_f32 v92, |v32|, |v33|, v92                          // 000000003EA8: D1D3035C 05724320
	v_max3_f32 v92, |v34|, |v35|, v92                          // 000000003EB0: D1D3035C 05724722
	v_max3_f32 v92, |v36|, |v37|, v92                          // 000000003EB8: D1D3035C 05724B24
	v_max3_f32 v92, |v38|, |v39|, v92                          // 000000003EC0: D1D3035C 05724F26
	v_max3_f32 v92, |v40|, |v41|, v92                          // 000000003EC8: D1D3035C 05725328
	v_max3_f32 v92, |v42|, |v43|, v92                          // 000000003ED0: D1D3035C 0572572A
	v_max3_f32 v92, |v44|, |v45|, v92                          // 000000003ED8: D1D3035C 05725B2C
	v_max3_f32 v92, |v46|, |v47|, v92                          // 000000003EE0: D1D3035C 05725F2E
	ds_write_b32 v128, v92 offset:1280                         // 000000003EE8: D81A0500 00005C80
	buffer_load_dword v66, v116, s[20:23], 0 offen             // 000000003EF0: E0501000 80054274
	v_sub_f32_e32 v94, v96, v97                                // 000000003EF8: 04BCC360
	v_cmp_eq_u32_e64 s[98:99], v107, v96                       // 000000003EFC: D0CA0062 0002C16B
	s_nop 0                                                    // 000000003F04: BF800000
	v_cndmask_b32_e64 v94, v94, 0, s[98:99]                    // 000000003F08: D100005E 0189015E
	v_mov_b32_e32 v96, v97                                     // 000000003F10: 7EC00361
	v_mul_f32_e32 v94, s46, v94                                // 000000003F14: 0ABCBC2E
	v_exp_f32_e32 v94, v94                                     // 000000003F18: 7EBC415E
	s_nop 0                                                    // 000000003F1C: BF800000
	v_mov_b32_e32 v95, v94                                     // 000000003F20: 7EBE035E
	buffer_load_dword v68, v117, s[24:27], 0 offen             // 000000003F24: E0501000 80064475
	s_waitcnt lgkmcnt(0)                                       // 000000003F2C: BF8CC07F
	s_barrier                                                  // 000000003F30: BF8A0000
	ds_read_b32 v76, v129 offset:1280                          // 000000003F34: D86C0500 4C000081
	ds_read_b32 v77, v129 offset:1344                          // 000000003F3C: D86C0540 4D000081
	ds_read_b32 v78, v129 offset:1408                          // 000000003F44: D86C0580 4E000081
	ds_read_b32 v79, v129 offset:1472                          // 000000003F4C: D86C05C0 4F000081
	ds_read_b32 v80, v129 offset:1536                          // 000000003F54: D86C0600 50000081
	ds_read_b32 v81, v129 offset:1600                          // 000000003F5C: D86C0640 51000081
	ds_read_b32 v82, v129 offset:1664                          // 000000003F64: D86C0680 52000081
	ds_read_b32 v83, v129 offset:1728                          // 000000003F6C: D86C06C0 53000081
	ds_read_b32 v84, v129 offset:1792                          // 000000003F74: D86C0700 54000081
	ds_read_b32 v85, v129 offset:1856                          // 000000003F7C: D86C0740 55000081
	ds_read_b32 v86, v129 offset:1920                          // 000000003F84: D86C0780 56000081
	ds_read_b32 v87, v129 offset:1984                          // 000000003F8C: D86C07C0 57000081
	ds_read_b32 v88, v129 offset:2048                          // 000000003F94: D86C0800 58000081
	ds_read_b32 v89, v129 offset:2112                          // 000000003F9C: D86C0840 59000081
	ds_read_b32 v90, v129 offset:2176                          // 000000003FA4: D86C0880 5A000081
	ds_read_b32 v91, v129 offset:2240                          // 000000003FAC: D86C08C0 5B000081
	buffer_load_dwordx4 a[64:67], v112, s[16:19], 0 offen      // 000000003FB4: E05C1000 80844070
	v_mul_f32_e32 v98, v94, v98                                // 000000003FBC: 0AC4C55E
	v_add_f32_e32 v98, v16, v98                                // 000000003FC0: 02C4C510
	v_add_f32_e32 v98, v17, v98                                // 000000003FC4: 02C4C511
	v_add_f32_e32 v98, v18, v98                                // 000000003FC8: 02C4C512
	v_add_f32_e32 v98, v19, v98                                // 000000003FCC: 02C4C513
	v_add_f32_e32 v98, v20, v98                                // 000000003FD0: 02C4C514
	v_add_f32_e32 v98, v21, v98                                // 000000003FD4: 02C4C515
	v_add_f32_e32 v98, v22, v98                                // 000000003FD8: 02C4C516
	v_add_f32_e32 v98, v23, v98                                // 000000003FDC: 02C4C517
	v_add_f32_e32 v98, v24, v98                                // 000000003FE0: 02C4C518
	v_add_f32_e32 v98, v25, v98                                // 000000003FE4: 02C4C519
	v_add_f32_e32 v98, v26, v98                                // 000000003FE8: 02C4C51A
	v_add_f32_e32 v98, v27, v98                                // 000000003FEC: 02C4C51B
	v_add_f32_e32 v98, v28, v98                                // 000000003FF0: 02C4C51C
	v_add_f32_e32 v98, v29, v98                                // 000000003FF4: 02C4C51D
	v_add_f32_e32 v98, v30, v98                                // 000000003FF8: 02C4C51E
	v_add_f32_e32 v98, v31, v98                                // 000000003FFC: 02C4C51F
	buffer_load_dwordx4 a[68:71], v113, s[16:19], 0 offen      // 000000004000: E05C1000 80844471
	s_waitcnt lgkmcnt(0)                                       // 000000004008: BF8CC07F
	v_max3_f32 v92, v76, v77, v92                              // 00000000400C: D1D3005C 05729B4C
	v_max3_f32 v92, v78, v79, v92                              // 000000004014: D1D3005C 05729F4E
	v_max3_f32 v92, v80, v81, v92                              // 00000000401C: D1D3005C 0572A350
	v_max3_f32 v92, v82, v83, v92                              // 000000004024: D1D3005C 0572A752
	v_max3_f32 v92, v84, v85, v92                              // 00000000402C: D1D3005C 0572AB54
	v_max3_f32 v92, v86, v87, v92                              // 000000004034: D1D3005C 0572AF56
	v_max3_f32 v92, v88, v89, v92                              // 00000000403C: D1D3005C 0572B358
	v_max3_f32 v92, v90, v91, v92                              // 000000004044: D1D3005C 0572B75A
	v_rcp_f32_e32 v92, v92                                     // 00000000404C: 7EB8455C
	s_nop 0                                                    // 000000004050: BF800000
	v_mul_f32_e32 v92, 0x43700000, v92                         // 000000004054: 0AB8B8FF 43700000
	v_mov_b32_e32 v93, v92                                     // 00000000405C: 7EBA035C
	v_pk_mul_f32 v[16:17], v[92:93], v[32:33]                  // 000000004060: D3B14010 1802415C
	v_pk_mul_f32 v[18:19], v[92:93], v[34:35]                  // 000000004068: D3B14012 1802455C
	v_pk_mul_f32 v[20:21], v[92:93], v[36:37]                  // 000000004070: D3B14014 1802495C
	v_pk_mul_f32 v[22:23], v[92:93], v[38:39]                  // 000000004078: D3B14016 18024D5C
	v_pk_mul_f32 v[24:25], v[92:93], v[40:41]                  // 000000004080: D3B14018 1802515C
	v_pk_mul_f32 v[26:27], v[92:93], v[42:43]                  // 000000004088: D3B1401A 1802555C
	v_pk_mul_f32 v[28:29], v[92:93], v[44:45]                  // 000000004090: D3B1401C 1802595C
	v_pk_mul_f32 v[30:31], v[92:93], v[46:47]                  // 000000004098: D3B1401E 18025D5C
	v_cvt_pk_fp8_f32 v16, v16, v17                             // 0000000040A0: D2A20010 00022310
	v_cvt_pk_fp8_f32 v16, v18, v19 op_sel:[0,0,1]              // 0000000040A8: D2A24010 00022712
	v_cvt_pk_fp8_f32 v17, v20, v21                             // 0000000040B0: D2A20011 00022B14
	v_cvt_pk_fp8_f32 v17, v22, v23 op_sel:[0,0,1]              // 0000000040B8: D2A24011 00022F16
	v_cvt_pk_fp8_f32 v18, v24, v25                             // 0000000040C0: D2A20012 00023318
	v_cvt_pk_fp8_f32 v18, v26, v27 op_sel:[0,0,1]              // 0000000040C8: D2A24012 0002371A
	v_cvt_pk_fp8_f32 v19, v28, v29                             // 0000000040D0: D2A20013 00023B1C
	v_cvt_pk_fp8_f32 v19, v30, v31 op_sel:[0,0,1]              // 0000000040D8: D2A24013 00023F1E
	ds_write_b32 v130, v16 offset:2560                         // 0000000040E0: D81A0A00 00001082
	ds_write_b32 v130, v17 offset:3584                         // 0000000040E8: D81A0E00 00001182
	ds_write_b32 v130, v18 offset:4608                         // 0000000040F0: D81A1200 00001282
	ds_write_b32 v130, v19 offset:5632                         // 0000000040F8: D81A1600 00001382
	v_rcp_f32_e32 v70, v92                                     // 000000004100: 7E8C455C
	s_nop 0                                                    // 000000004104: BF800000
	v_mov_b32_e32 v71, v70                                     // 000000004108: 7E8E0346
	buffer_load_dwordx4 a[72:75], v114, s[16:19], 0 offen      // 00000000410C: E05C1000 80844872
	v_pk_add_f32 v[56:57], v[56:57], v[48:49]                  // 000000004114: D3B24038 18026138
	v_pk_add_f32 v[58:59], v[58:59], v[50:51]                  // 00000000411C: D3B2403A 1802653A
	v_pk_add_f32 v[60:61], v[60:61], v[52:53]                  // 000000004124: D3B2403C 1802693C
	v_pk_add_f32 v[62:63], v[62:63], v[54:55]                  // 00000000412C: D3B2403E 18026D3E
	s_waitcnt lgkmcnt(0)                                       // 000000004134: BF8CC07F
	s_barrier                                                  // 000000004138: BF8A0000
	ds_read_b128 v[16:19], v131 offset:2560                    // 00000000413C: D9FE0A00 10000083
	ds_read_b128 v[20:23], v131 offset:3584                    // 000000004144: D9FE0E00 14000083
	ds_read_b128 v[24:27], v131 offset:4608                    // 00000000414C: D9FE1200 18000083
	ds_read_b128 v[28:31], v131 offset:5632                    // 000000004154: D9FE1600 1C000083
	buffer_load_dwordx4 a[76:79], v115, s[16:19], 0 offen      // 00000000415C: E05C1000 80844C73
	s_waitcnt vmcnt(14)                                        // 000000004164: BF8C0F7E
	s_waitcnt lgkmcnt(3)                                       // 000000004168: BF8CC37F
	v_mfma_f32_16x16x32_fp8_fp8 v[48:51], a[96:97], v[16:17], 0// 00000000416C: D3F30030 0A022160
	v_mfma_f32_16x16x32_fp8_fp8 v[52:55], a[112:113], v[16:17], 0// 000000004174: D3F30034 0A022170
	v_mfma_f32_16x16x32_fp8_fp8 v[48:51], a[98:99], v[18:19], v[48:51]// 00000000417C: D3F30030 0CC22562
	buffer_load_dwordx4 a[80:83], v112, s[16:19], 0 offen offset:1024// 000000004184: E05C1400 80845070
	v_mfma_f32_16x16x32_fp8_fp8 v[52:55], a[114:115], v[18:19], v[52:55]// 00000000418C: D3F30034 0CD22572
	s_waitcnt lgkmcnt(2)                                       // 000000004194: BF8CC27F
	v_mfma_f32_16x16x32_fp8_fp8 v[48:51], a[100:101], v[20:21], v[48:51]// 000000004198: D3F30030 0CC22964
	v_mfma_f32_16x16x32_fp8_fp8 v[52:55], a[116:117], v[20:21], v[52:55]// 0000000041A0: D3F30034 0CD22974
	v_mfma_f32_16x16x32_fp8_fp8 v[48:51], a[102:103], v[22:23], v[48:51]// 0000000041A8: D3F30030 0CC22D66
	buffer_load_dwordx4 a[84:87], v113, s[16:19], 0 offen offset:1024// 0000000041B0: E05C1400 80845471
	v_mfma_f32_16x16x32_fp8_fp8 v[52:55], a[118:119], v[22:23], v[52:55]// 0000000041B8: D3F30034 0CD22D76
	s_waitcnt lgkmcnt(1)                                       // 0000000041C0: BF8CC17F
	v_mfma_f32_16x16x32_fp8_fp8 v[48:51], a[104:105], v[24:25], v[48:51]// 0000000041C4: D3F30030 0CC23168
	v_mfma_f32_16x16x32_fp8_fp8 v[52:55], a[120:121], v[24:25], v[52:55]// 0000000041CC: D3F30034 0CD23178
	v_mfma_f32_16x16x32_fp8_fp8 v[48:51], a[106:107], v[26:27], v[48:51]// 0000000041D4: D3F30030 0CC2356A
	buffer_load_dwordx4 a[88:91], v114, s[16:19], 0 offen offset:1024// 0000000041DC: E05C1400 80845872
	v_mfma_f32_16x16x32_fp8_fp8 v[52:55], a[122:123], v[26:27], v[52:55]// 0000000041E4: D3F30034 0CD2357A
	s_waitcnt lgkmcnt(0)                                       // 0000000041EC: BF8CC07F
	v_mfma_f32_16x16x32_fp8_fp8 v[48:51], a[108:109], v[28:29], v[48:51]// 0000000041F0: D3F30030 0CC2396C
	v_mfma_f32_16x16x32_fp8_fp8 v[52:55], a[124:125], v[28:29], v[52:55]// 0000000041F8: D3F30034 0CD2397C
	v_mfma_f32_16x16x32_fp8_fp8 v[48:51], a[110:111], v[30:31], v[48:51]// 000000004200: D3F30030 0CC23D6E
	buffer_load_dwordx4 a[92:95], v115, s[16:19], 0 offen offset:1024// 000000004208: E05C1400 80845C73
	v_mfma_f32_16x16x32_fp8_fp8 v[52:55], a[126:127], v[30:31], v[52:55]// 000000004210: D3F30034 0CD23D7E
	s_addk_i32 s64, 0x100                                      // 000000004218: B7400100
	s_cmp_lt_i32 s64, s63                                      // 00000000421C: BF043F40
	s_cbranch_scc0 label_1A01                                  // 000000004220: BF841378
	s_waitcnt vmcnt(10)                                        // 000000004224: BF8C0F7A
	v_mfma_f32_16x16x32_fp8_fp8 v[16:19], a[0:1], v[8:9], 0    // 000000004228: D3F30010 0A021100
	s_add_u32 s12, s86, s69                                    // 000000004230: 800C4556
	s_addc_u32 s13, s87, 0                                     // 000000004234: 820D8057
	v_mfma_f32_16x16x32_fp8_fp8 v[16:19], a[2:3], v[10:11], v[16:19]// 000000004238: D3F30010 0C421502
	s_add_u32 s16, s88, s70                                    // 000000004240: 80104658
	s_addc_u32 s17, s89, 0                                     // 000000004244: 82118059
	v_mfma_f32_16x16x32_fp8_fp8 v[16:19], a[4:5], v[12:13], v[16:19]// 000000004248: D3F30010 0C421904
	buffer_load_dwordx4 a[32:35], v110, s[12:15], 0 offen      // 000000004250: E05C1000 8083206E
	v_mfma_f32_16x16x32_fp8_fp8 v[16:19], a[6:7], v[14:15], v[16:19]// 000000004258: D3F30010 0C421D06
	s_add_u32 s20, s90, s71                                    // 000000004260: 8014475A
	s_addc_u32 s21, s91, 0                                     // 000000004264: 8215805B
	v_mfma_f32_16x16x32_fp8_fp8 v[20:23], a[8:9], v[8:9], 0    // 000000004268: D3F30014 0A021108
	s_add_u32 s24, s92, s71                                    // 000000004270: 8018475C
	s_addc_u32 s25, s93, 0                                     // 000000004274: 8219805D
	v_mfma_f32_16x16x32_fp8_fp8 v[20:23], a[10:11], v[10:11], v[20:23]// 000000004278: D3F30014 0C52150A
	s_mul_i32 s69, s59, s50                                    // 000000004280: 9245323B
	s_mul_i32 s71, s59, s66                                    // 000000004284: 9247423B
	v_mfma_f32_16x16x32_fp8_fp8 v[20:23], a[12:13], v[12:13], v[20:23]// 000000004288: D3F30014 0C52190C
	buffer_load_dwordx4 a[36:39], v111, s[12:15], 0 offen      // 000000004290: E05C1000 8083246F
	v_mfma_f32_16x16x32_fp8_fp8 v[20:23], a[14:15], v[14:15], v[20:23]// 000000004298: D3F30014 0C521D0E
	s_mul_i32 s54, s78, s51                                    // 0000000042A0: 9236334E
	s_add_u32 s69, s69, s54                                    // 0000000042A4: 80453645
	v_mfma_f32_16x16x32_fp8_fp8 v[24:27], a[16:17], v[8:9], 0  // 0000000042A8: D3F30018 0A021110
	s_mov_b32 s70, s69                                         // 0000000042B0: BEC60045
	v_mfma_f32_16x16x32_fp8_fp8 v[24:27], a[18:19], v[10:11], v[24:27]// 0000000042B4: D3F30018 0C621512
	s_mul_i32 s54, s78, s100                                   // 0000000042BC: 9236644E
	s_add_u32 s71, s71, s54                                    // 0000000042C0: 80473647
	v_mfma_f32_16x16x32_fp8_fp8 v[24:27], a[20:21], v[12:13], v[24:27]// 0000000042C4: D3F30018 0C621914
	buffer_load_dwordx4 a[40:43], v110, s[12:15], 0 offen offset:1024// 0000000042CC: E05C1400 8083286E
	v_mfma_f32_16x16x32_fp8_fp8 v[24:27], a[22:23], v[14:15], v[24:27]// 0000000042D4: D3F30018 0C621D16
	v_mfma_f32_16x16x32_fp8_fp8 v[28:31], a[24:25], v[8:9], 0  // 0000000042DC: D3F3001C 0A021118
	v_mfma_f32_16x16x32_fp8_fp8 v[28:31], a[26:27], v[10:11], v[28:31]// 0000000042E4: D3F3001C 0C72151A
	v_mfma_f32_16x16x32_fp8_fp8 v[28:31], a[28:29], v[12:13], v[28:31]// 0000000042EC: D3F3001C 0C72191C
	buffer_load_dwordx4 a[44:47], v111, s[12:15], 0 offen offset:1024// 0000000042F4: E05C1400 80832C6F
	v_mfma_f32_16x16x32_fp8_fp8 v[28:31], a[30:31], v[14:15], v[28:31]// 0000000042FC: D3F3001C 0C721D1E
	s_waitcnt vmcnt(12)                                        // 000000004304: BF8C0F7C
	v_pk_mul_f32 v[16:17], v[64:65], v[16:17]                  // 000000004308: D3B14010 18022140
	v_pk_mul_f32 v[18:19], v[64:65], v[18:19]                  // 000000004310: D3B14012 18022540
	v_mul_f32_dpp v16, v66, v16 row_newbcast:0 row_mask:0xf bank_mask:0xf// 000000004318: 0A2020FA FF015042
	v_mul_f32_dpp v17, v66, v17 row_newbcast:1 row_mask:0xf bank_mask:0xf// 000000004320: 0A2222FA FF015142
	v_mul_f32_dpp v18, v66, v18 row_newbcast:2 row_mask:0xf bank_mask:0xf// 000000004328: 0A2424FA FF015242
	v_mul_f32_dpp v19, v66, v19 row_newbcast:3 row_mask:0xf bank_mask:0xf// 000000004330: 0A2626FA FF015342
	v_pk_mul_f32 v[20:21], v[64:65], v[20:21]                  // 000000004338: D3B14014 18022940
	v_pk_mul_f32 v[22:23], v[64:65], v[22:23]                  // 000000004340: D3B14016 18022D40
	v_mul_f32_dpp v20, v66, v20 row_newbcast:4 row_mask:0xf bank_mask:0xf// 000000004348: 0A2828FA FF015442
	v_mul_f32_dpp v21, v66, v21 row_newbcast:5 row_mask:0xf bank_mask:0xf// 000000004350: 0A2A2AFA FF015542
	v_mul_f32_dpp v22, v66, v22 row_newbcast:6 row_mask:0xf bank_mask:0xf// 000000004358: 0A2C2CFA FF015642
	v_mul_f32_dpp v23, v66, v23 row_newbcast:7 row_mask:0xf bank_mask:0xf// 000000004360: 0A2E2EFA FF015742
	v_pk_mul_f32 v[24:25], v[64:65], v[24:25]                  // 000000004368: D3B14018 18023140
	v_pk_mul_f32 v[26:27], v[64:65], v[26:27]                  // 000000004370: D3B1401A 18023540
	v_mul_f32_dpp v24, v66, v24 row_newbcast:8 row_mask:0xf bank_mask:0xf// 000000004378: 0A3030FA FF015842
	v_mul_f32_dpp v25, v66, v25 row_newbcast:9 row_mask:0xf bank_mask:0xf// 000000004380: 0A3232FA FF015942
	v_mul_f32_dpp v26, v66, v26 row_newbcast:10 row_mask:0xf bank_mask:0xf// 000000004388: 0A3434FA FF015A42
	v_mul_f32_dpp v27, v66, v27 row_newbcast:11 row_mask:0xf bank_mask:0xf// 000000004390: 0A3636FA FF015B42
	v_pk_mul_f32 v[28:29], v[64:65], v[28:29]                  // 000000004398: D3B1401C 18023940
	v_pk_mul_f32 v[30:31], v[64:65], v[30:31]                  // 0000000043A0: D3B1401E 18023D40
	v_mul_f32_dpp v28, v66, v28 row_newbcast:12 row_mask:0xf bank_mask:0xf// 0000000043A8: 0A3838FA FF015C42
	v_mul_f32_dpp v29, v66, v29 row_newbcast:13 row_mask:0xf bank_mask:0xf// 0000000043B0: 0A3A3AFA FF015D42
	v_mul_f32_dpp v30, v66, v30 row_newbcast:14 row_mask:0xf bank_mask:0xf// 0000000043B8: 0A3C3CFA FF015E42
	v_mul_f32_dpp v31, v66, v31 row_newbcast:15 row_mask:0xf bank_mask:0xf// 0000000043C0: 0A3E3EFA FF015F42
	buffer_load_dwordx4 a[48:51], v110, s[12:15], 0 offen offset:2048// 0000000043C8: E05C1800 8083306E
	v_mov_b32_e32 v92, v16                                     // 0000000043D0: 7EB80310
	v_max3_f32 v92, v16, v17, v92                              // 0000000043D4: D1D3005C 05722310
	v_max3_f32 v92, v18, v19, v92                              // 0000000043DC: D1D3005C 05722712
	v_max3_f32 v92, v20, v21, v92                              // 0000000043E4: D1D3005C 05722B14
	v_max3_f32 v92, v22, v23, v92                              // 0000000043EC: D1D3005C 05722F16
	v_max3_f32 v92, v24, v25, v92                              // 0000000043F4: D1D3005C 05723318
	v_max3_f32 v92, v26, v27, v92                              // 0000000043FC: D1D3005C 0572371A
	v_max3_f32 v92, v28, v29, v92                              // 000000004404: D1D3005C 05723B1C
	v_max3_f32 v92, v30, v31, v92                              // 00000000440C: D1D3005C 05723F1E
	ds_write_b32 v128, v92                                     // 000000004414: D81A0000 00005C80
	v_pk_mul_f32 v[56:57], v[94:95], v[56:57]                  // 00000000441C: D3B14038 1802715E
	v_pk_mul_f32 v[58:59], v[94:95], v[58:59]                  // 000000004424: D3B1403A 1802755E
	v_pk_mul_f32 v[60:61], v[94:95], v[60:61]                  // 00000000442C: D3B1403C 1802795E
	v_pk_mul_f32 v[62:63], v[94:95], v[62:63]                  // 000000004434: D3B1403E 18027D5E
	buffer_load_dwordx4 a[52:55], v111, s[12:15], 0 offen offset:2048// 00000000443C: E05C1800 8083346F
	s_waitcnt lgkmcnt(0)                                       // 000000004444: BF8CC07F
	s_barrier                                                  // 000000004448: BF8A0000
	ds_read_b32 v76, v129                                      // 00000000444C: D86C0000 4C000081
	ds_read_b32 v77, v129 offset:64                            // 000000004454: D86C0040 4D000081
	ds_read_b32 v78, v129 offset:128                           // 00000000445C: D86C0080 4E000081
	ds_read_b32 v79, v129 offset:192                           // 000000004464: D86C00C0 4F000081
	ds_read_b32 v80, v129 offset:256                           // 00000000446C: D86C0100 50000081
	ds_read_b32 v81, v129 offset:320                           // 000000004474: D86C0140 51000081
	ds_read_b32 v82, v129 offset:384                           // 00000000447C: D86C0180 52000081
	ds_read_b32 v83, v129 offset:448                           // 000000004484: D86C01C0 53000081
	ds_read_b32 v84, v129 offset:512                           // 00000000448C: D86C0200 54000081
	ds_read_b32 v85, v129 offset:576                           // 000000004494: D86C0240 55000081
	ds_read_b32 v86, v129 offset:640                           // 00000000449C: D86C0280 56000081
	ds_read_b32 v87, v129 offset:704                           // 0000000044A4: D86C02C0 57000081
	ds_read_b32 v88, v129 offset:768                           // 0000000044AC: D86C0300 58000081
	ds_read_b32 v89, v129 offset:832                           // 0000000044B4: D86C0340 59000081
	ds_read_b32 v90, v129 offset:896                           // 0000000044BC: D86C0380 5A000081
	ds_read_b32 v91, v129 offset:960                           // 0000000044C4: D86C03C0 5B000081
	buffer_load_dwordx4 a[60:63], v111, s[12:15], 0 offen offset:3072// 0000000044CC: E05C1C00 80833C6F
	v_pk_mul_f32 v[48:49], v[70:71], v[48:49]                  // 0000000044D4: D3B14030 18026146
	v_pk_mul_f32 v[50:51], v[70:71], v[50:51]                  // 0000000044DC: D3B14032 18026546
	v_pk_mul_f32 v[52:53], v[70:71], v[52:53]                  // 0000000044E4: D3B14034 18026946
	v_pk_mul_f32 v[54:55], v[70:71], v[54:55]                  // 0000000044EC: D3B14036 18026D46
	buffer_load_dwordx4 a[56:59], v110, s[12:15], 0 offen offset:3072// 0000000044F4: E05C1C00 8083386E
	s_waitcnt lgkmcnt(0)                                       // 0000000044FC: BF8CC07F
	v_max3_f32 v92, v76, v77, v92                              // 000000004500: D1D3005C 05729B4C
	v_max3_f32 v92, v78, v79, v92                              // 000000004508: D1D3005C 05729F4E
	v_max3_f32 v92, v80, v81, v92                              // 000000004510: D1D3005C 0572A350
	v_max3_f32 v92, v82, v83, v92                              // 000000004518: D1D3005C 0572A752
	v_max3_f32 v92, v84, v85, v92                              // 000000004520: D1D3005C 0572AB54
	v_max3_f32 v92, v86, v87, v92                              // 000000004528: D1D3005C 0572AF56
	v_max3_f32 v92, v88, v89, v92                              // 000000004530: D1D3005C 0572B358
	v_max3_f32 v92, v90, v91, v92                              // 000000004538: D1D3005C 0572B75A
	v_max_f32_e32 v97, v92, v96                                // 000000004540: 16C2C15C
	v_mul_f32_e64 v72, -s46, v97                               // 000000004544: D1050048 2002C22E
	v_mov_b32_e32 v73, v72                                     // 00000000454C: 7E920348
	v_pk_fma_f32 v[16:17], v[16:17], s[46:47], v[72:73]        // 000000004550: D3B04010 1D205D10
	v_pk_fma_f32 v[18:19], v[18:19], s[46:47], v[72:73]        // 000000004558: D3B04012 1D205D12
	v_exp_f32_e32 v16, v16                                     // 000000004560: 7E204110
	v_exp_f32_e32 v17, v17                                     // 000000004564: 7E224111
	v_exp_f32_e32 v18, v18                                     // 000000004568: 7E244112
	v_exp_f32_e32 v19, v19                                     // 00000000456C: 7E264113
	v_pk_fma_f32 v[20:21], v[20:21], s[46:47], v[72:73]        // 000000004570: D3B04014 1D205D14
	v_pk_fma_f32 v[22:23], v[22:23], s[46:47], v[72:73]        // 000000004578: D3B04016 1D205D16
	v_exp_f32_e32 v20, v20                                     // 000000004580: 7E284114
	v_exp_f32_e32 v21, v21                                     // 000000004584: 7E2A4115
	v_exp_f32_e32 v22, v22                                     // 000000004588: 7E2C4116
	v_exp_f32_e32 v23, v23                                     // 00000000458C: 7E2E4117
	v_pk_fma_f32 v[24:25], v[24:25], s[46:47], v[72:73]        // 000000004590: D3B04018 1D205D18
	v_pk_fma_f32 v[26:27], v[26:27], s[46:47], v[72:73]        // 000000004598: D3B0401A 1D205D1A
	v_exp_f32_e32 v24, v24                                     // 0000000045A0: 7E304118
	v_exp_f32_e32 v25, v25                                     // 0000000045A4: 7E324119
	v_exp_f32_e32 v26, v26                                     // 0000000045A8: 7E34411A
	v_exp_f32_e32 v27, v27                                     // 0000000045AC: 7E36411B
	v_pk_fma_f32 v[28:29], v[28:29], s[46:47], v[72:73]        // 0000000045B0: D3B0401C 1D205D1C
	v_pk_fma_f32 v[30:31], v[30:31], s[46:47], v[72:73]        // 0000000045B8: D3B0401E 1D205D1E
	v_exp_f32_e32 v28, v28                                     // 0000000045C0: 7E38411C
	v_exp_f32_e32 v29, v29                                     // 0000000045C4: 7E3A411D
	v_exp_f32_e32 v30, v30                                     // 0000000045C8: 7E3C411E
	v_exp_f32_e32 v31, v31                                     // 0000000045CC: 7E3E411F
	v_mul_f32_dpp v32, v68, v16 row_newbcast:0 row_mask:0xf bank_mask:0xf// 0000000045D0: 0A4020FA FF015044
	v_mul_f32_dpp v33, v68, v17 row_newbcast:1 row_mask:0xf bank_mask:0xf// 0000000045D8: 0A4222FA FF015144
	v_mul_f32_dpp v34, v68, v18 row_newbcast:2 row_mask:0xf bank_mask:0xf// 0000000045E0: 0A4424FA FF015244
	v_mul_f32_dpp v35, v68, v19 row_newbcast:3 row_mask:0xf bank_mask:0xf// 0000000045E8: 0A4626FA FF015344
	v_mul_f32_dpp v36, v68, v20 row_newbcast:4 row_mask:0xf bank_mask:0xf// 0000000045F0: 0A4828FA FF015444
	v_mul_f32_dpp v37, v68, v21 row_newbcast:5 row_mask:0xf bank_mask:0xf// 0000000045F8: 0A4A2AFA FF015544
	v_mul_f32_dpp v38, v68, v22 row_newbcast:6 row_mask:0xf bank_mask:0xf// 000000004600: 0A4C2CFA FF015644
	v_mul_f32_dpp v39, v68, v23 row_newbcast:7 row_mask:0xf bank_mask:0xf// 000000004608: 0A4E2EFA FF015744
	v_mul_f32_dpp v40, v68, v24 row_newbcast:8 row_mask:0xf bank_mask:0xf// 000000004610: 0A5030FA FF015844
	v_mul_f32_dpp v41, v68, v25 row_newbcast:9 row_mask:0xf bank_mask:0xf// 000000004618: 0A5232FA FF015944
	v_mul_f32_dpp v42, v68, v26 row_newbcast:10 row_mask:0xf bank_mask:0xf// 000000004620: 0A5434FA FF015A44
	v_mul_f32_dpp v43, v68, v27 row_newbcast:11 row_mask:0xf bank_mask:0xf// 000000004628: 0A5636FA FF015B44
	v_mul_f32_dpp v44, v68, v28 row_newbcast:12 row_mask:0xf bank_mask:0xf// 000000004630: 0A5838FA FF015C44
	v_mul_f32_dpp v45, v68, v29 row_newbcast:13 row_mask:0xf bank_mask:0xf// 000000004638: 0A5A3AFA FF015D44
	v_mul_f32_dpp v46, v68, v30 row_newbcast:14 row_mask:0xf bank_mask:0xf// 000000004640: 0A5C3CFA FF015E44
	v_mul_f32_dpp v47, v68, v31 row_newbcast:15 row_mask:0xf bank_mask:0xf// 000000004648: 0A5E3EFA FF015F44
	v_mov_b32_e32 v92, 0x358637bd                              // 000000004650: 7EB802FF 358637BD
	v_max3_f32 v92, |v32|, |v33|, v92                          // 000000004658: D1D3035C 05724320
	v_max3_f32 v92, |v34|, |v35|, v92                          // 000000004660: D1D3035C 05724722
	v_max3_f32 v92, |v36|, |v37|, v92                          // 000000004668: D1D3035C 05724B24
	v_max3_f32 v92, |v38|, |v39|, v92                          // 000000004670: D1D3035C 05724F26
	v_max3_f32 v92, |v40|, |v41|, v92                          // 000000004678: D1D3035C 05725328
	v_max3_f32 v92, |v42|, |v43|, v92                          // 000000004680: D1D3035C 0572572A
	v_max3_f32 v92, |v44|, |v45|, v92                          // 000000004688: D1D3035C 05725B2C
	v_max3_f32 v92, |v46|, |v47|, v92                          // 000000004690: D1D3035C 05725F2E
	ds_write_b32 v128, v92 offset:1280                         // 000000004698: D81A0500 00005C80
	buffer_load_dword v67, v116, s[20:23], 0 offen             // 0000000046A0: E0501000 80054374
	v_sub_f32_e32 v94, v96, v97                                // 0000000046A8: 04BCC360
	v_cmp_eq_u32_e64 s[98:99], v107, v96                       // 0000000046AC: D0CA0062 0002C16B
	s_nop 0                                                    // 0000000046B4: BF800000
	v_cndmask_b32_e64 v94, v94, 0, s[98:99]                    // 0000000046B8: D100005E 0189015E
	v_mov_b32_e32 v96, v97                                     // 0000000046C0: 7EC00361
	v_mul_f32_e32 v94, s46, v94                                // 0000000046C4: 0ABCBC2E
	v_exp_f32_e32 v94, v94                                     // 0000000046C8: 7EBC415E
	s_nop 0                                                    // 0000000046CC: BF800000
	v_mov_b32_e32 v95, v94                                     // 0000000046D0: 7EBE035E
	buffer_load_dword v69, v117, s[24:27], 0 offen             // 0000000046D4: E0501000 80064575
	s_waitcnt lgkmcnt(0)                                       // 0000000046DC: BF8CC07F
	s_barrier                                                  // 0000000046E0: BF8A0000
	ds_read_b32 v76, v129 offset:1280                          // 0000000046E4: D86C0500 4C000081
	ds_read_b32 v77, v129 offset:1344                          // 0000000046EC: D86C0540 4D000081
	ds_read_b32 v78, v129 offset:1408                          // 0000000046F4: D86C0580 4E000081
	ds_read_b32 v79, v129 offset:1472                          // 0000000046FC: D86C05C0 4F000081
	ds_read_b32 v80, v129 offset:1536                          // 000000004704: D86C0600 50000081
	ds_read_b32 v81, v129 offset:1600                          // 00000000470C: D86C0640 51000081
	ds_read_b32 v82, v129 offset:1664                          // 000000004714: D86C0680 52000081
	ds_read_b32 v83, v129 offset:1728                          // 00000000471C: D86C06C0 53000081
	ds_read_b32 v84, v129 offset:1792                          // 000000004724: D86C0700 54000081
	ds_read_b32 v85, v129 offset:1856                          // 00000000472C: D86C0740 55000081
	ds_read_b32 v86, v129 offset:1920                          // 000000004734: D86C0780 56000081
	ds_read_b32 v87, v129 offset:1984                          // 00000000473C: D86C07C0 57000081
	ds_read_b32 v88, v129 offset:2048                          // 000000004744: D86C0800 58000081
	ds_read_b32 v89, v129 offset:2112                          // 00000000474C: D86C0840 59000081
	ds_read_b32 v90, v129 offset:2176                          // 000000004754: D86C0880 5A000081
	ds_read_b32 v91, v129 offset:2240                          // 00000000475C: D86C08C0 5B000081
	buffer_load_dwordx4 a[96:99], v112, s[16:19], 0 offen      // 000000004764: E05C1000 80846070
	v_mul_f32_e32 v98, v94, v98                                // 00000000476C: 0AC4C55E
	v_add_f32_e32 v98, v16, v98                                // 000000004770: 02C4C510
	v_add_f32_e32 v98, v17, v98                                // 000000004774: 02C4C511
	v_add_f32_e32 v98, v18, v98                                // 000000004778: 02C4C512
	v_add_f32_e32 v98, v19, v98                                // 00000000477C: 02C4C513
	v_add_f32_e32 v98, v20, v98                                // 000000004780: 02C4C514
	v_add_f32_e32 v98, v21, v98                                // 000000004784: 02C4C515
	v_add_f32_e32 v98, v22, v98                                // 000000004788: 02C4C516
	v_add_f32_e32 v98, v23, v98                                // 00000000478C: 02C4C517
	v_add_f32_e32 v98, v24, v98                                // 000000004790: 02C4C518
	v_add_f32_e32 v98, v25, v98                                // 000000004794: 02C4C519
	v_add_f32_e32 v98, v26, v98                                // 000000004798: 02C4C51A
	v_add_f32_e32 v98, v27, v98                                // 00000000479C: 02C4C51B
	v_add_f32_e32 v98, v28, v98                                // 0000000047A0: 02C4C51C
	v_add_f32_e32 v98, v29, v98                                // 0000000047A4: 02C4C51D
	v_add_f32_e32 v98, v30, v98                                // 0000000047A8: 02C4C51E
	v_add_f32_e32 v98, v31, v98                                // 0000000047AC: 02C4C51F
	buffer_load_dwordx4 a[100:103], v113, s[16:19], 0 offen    // 0000000047B0: E05C1000 80846471
	s_waitcnt lgkmcnt(0)                                       // 0000000047B8: BF8CC07F
	v_max3_f32 v92, v76, v77, v92                              // 0000000047BC: D1D3005C 05729B4C
	v_max3_f32 v92, v78, v79, v92                              // 0000000047C4: D1D3005C 05729F4E
	v_max3_f32 v92, v80, v81, v92                              // 0000000047CC: D1D3005C 0572A350
	v_max3_f32 v92, v82, v83, v92                              // 0000000047D4: D1D3005C 0572A752
	v_max3_f32 v92, v84, v85, v92                              // 0000000047DC: D1D3005C 0572AB54
	v_max3_f32 v92, v86, v87, v92                              // 0000000047E4: D1D3005C 0572AF56
	v_max3_f32 v92, v88, v89, v92                              // 0000000047EC: D1D3005C 0572B358
	v_max3_f32 v92, v90, v91, v92                              // 0000000047F4: D1D3005C 0572B75A
	v_rcp_f32_e32 v92, v92                                     // 0000000047FC: 7EB8455C
	s_nop 0                                                    // 000000004800: BF800000
	v_mul_f32_e32 v92, 0x43700000, v92                         // 000000004804: 0AB8B8FF 43700000
	v_mov_b32_e32 v93, v92                                     // 00000000480C: 7EBA035C
	v_pk_mul_f32 v[16:17], v[92:93], v[32:33]                  // 000000004810: D3B14010 1802415C
	v_pk_mul_f32 v[18:19], v[92:93], v[34:35]                  // 000000004818: D3B14012 1802455C
	v_pk_mul_f32 v[20:21], v[92:93], v[36:37]                  // 000000004820: D3B14014 1802495C
	v_pk_mul_f32 v[22:23], v[92:93], v[38:39]                  // 000000004828: D3B14016 18024D5C
	v_pk_mul_f32 v[24:25], v[92:93], v[40:41]                  // 000000004830: D3B14018 1802515C
	v_pk_mul_f32 v[26:27], v[92:93], v[42:43]                  // 000000004838: D3B1401A 1802555C
	v_pk_mul_f32 v[28:29], v[92:93], v[44:45]                  // 000000004840: D3B1401C 1802595C
	v_pk_mul_f32 v[30:31], v[92:93], v[46:47]                  // 000000004848: D3B1401E 18025D5C
	v_cvt_pk_fp8_f32 v16, v16, v17                             // 000000004850: D2A20010 00022310
	v_cvt_pk_fp8_f32 v16, v18, v19 op_sel:[0,0,1]              // 000000004858: D2A24010 00022712
	v_cvt_pk_fp8_f32 v17, v20, v21                             // 000000004860: D2A20011 00022B14
	v_cvt_pk_fp8_f32 v17, v22, v23 op_sel:[0,0,1]              // 000000004868: D2A24011 00022F16
	v_cvt_pk_fp8_f32 v18, v24, v25                             // 000000004870: D2A20012 00023318
	v_cvt_pk_fp8_f32 v18, v26, v27 op_sel:[0,0,1]              // 000000004878: D2A24012 0002371A
	v_cvt_pk_fp8_f32 v19, v28, v29                             // 000000004880: D2A20013 00023B1C
	v_cvt_pk_fp8_f32 v19, v30, v31 op_sel:[0,0,1]              // 000000004888: D2A24013 00023F1E
	ds_write_b32 v130, v16 offset:2560                         // 000000004890: D81A0A00 00001082
	ds_write_b32 v130, v17 offset:3584                         // 000000004898: D81A0E00 00001182
	ds_write_b32 v130, v18 offset:4608                         // 0000000048A0: D81A1200 00001282
	ds_write_b32 v130, v19 offset:5632                         // 0000000048A8: D81A1600 00001382
	v_rcp_f32_e32 v70, v92                                     // 0000000048B0: 7E8C455C
	s_nop 0                                                    // 0000000048B4: BF800000
	v_mov_b32_e32 v71, v70                                     // 0000000048B8: 7E8E0346
	buffer_load_dwordx4 a[104:107], v114, s[16:19], 0 offen    // 0000000048BC: E05C1000 80846872
	v_pk_add_f32 v[56:57], v[56:57], v[48:49]                  // 0000000048C4: D3B24038 18026138
	v_pk_add_f32 v[58:59], v[58:59], v[50:51]                  // 0000000048CC: D3B2403A 1802653A
	v_pk_add_f32 v[60:61], v[60:61], v[52:53]                  // 0000000048D4: D3B2403C 1802693C
	v_pk_add_f32 v[62:63], v[62:63], v[54:55]                  // 0000000048DC: D3B2403E 18026D3E
	s_waitcnt lgkmcnt(0)                                       // 0000000048E4: BF8CC07F
	s_barrier                                                  // 0000000048E8: BF8A0000
	ds_read_b128 v[16:19], v131 offset:2560                    // 0000000048EC: D9FE0A00 10000083
	ds_read_b128 v[20:23], v131 offset:3584                    // 0000000048F4: D9FE0E00 14000083
	ds_read_b128 v[24:27], v131 offset:4608                    // 0000000048FC: D9FE1200 18000083
	ds_read_b128 v[28:31], v131 offset:5632                    // 000000004904: D9FE1600 1C000083
	buffer_load_dwordx4 a[108:111], v115, s[16:19], 0 offen    // 00000000490C: E05C1000 80846C73
	s_waitcnt vmcnt(14)                                        // 000000004914: BF8C0F7E
	s_waitcnt lgkmcnt(3)                                       // 000000004918: BF8CC37F
	v_mfma_f32_16x16x32_fp8_fp8 v[48:51], a[64:65], v[16:17], 0// 00000000491C: D3F30030 0A022140
	v_mfma_f32_16x16x32_fp8_fp8 v[52:55], a[80:81], v[16:17], 0// 000000004924: D3F30034 0A022150
	v_mfma_f32_16x16x32_fp8_fp8 v[48:51], a[66:67], v[18:19], v[48:51]// 00000000492C: D3F30030 0CC22542
	buffer_load_dwordx4 a[112:115], v112, s[16:19], 0 offen offset:1024// 000000004934: E05C1400 80847070
	v_mfma_f32_16x16x32_fp8_fp8 v[52:55], a[82:83], v[18:19], v[52:55]// 00000000493C: D3F30034 0CD22552
	s_waitcnt lgkmcnt(2)                                       // 000000004944: BF8CC27F
	v_mfma_f32_16x16x32_fp8_fp8 v[48:51], a[68:69], v[20:21], v[48:51]// 000000004948: D3F30030 0CC22944
	v_mfma_f32_16x16x32_fp8_fp8 v[52:55], a[84:85], v[20:21], v[52:55]// 000000004950: D3F30034 0CD22954
	v_mfma_f32_16x16x32_fp8_fp8 v[48:51], a[70:71], v[22:23], v[48:51]// 000000004958: D3F30030 0CC22D46
	buffer_load_dwordx4 a[116:119], v113, s[16:19], 0 offen offset:1024// 000000004960: E05C1400 80847471
	v_mfma_f32_16x16x32_fp8_fp8 v[52:55], a[86:87], v[22:23], v[52:55]// 000000004968: D3F30034 0CD22D56
	s_waitcnt lgkmcnt(1)                                       // 000000004970: BF8CC17F
	v_mfma_f32_16x16x32_fp8_fp8 v[48:51], a[72:73], v[24:25], v[48:51]// 000000004974: D3F30030 0CC23148
	v_mfma_f32_16x16x32_fp8_fp8 v[52:55], a[88:89], v[24:25], v[52:55]// 00000000497C: D3F30034 0CD23158
	v_mfma_f32_16x16x32_fp8_fp8 v[48:51], a[74:75], v[26:27], v[48:51]// 000000004984: D3F30030 0CC2354A
	buffer_load_dwordx4 a[120:123], v114, s[16:19], 0 offen offset:1024// 00000000498C: E05C1400 80847872
	v_mfma_f32_16x16x32_fp8_fp8 v[52:55], a[90:91], v[26:27], v[52:55]// 000000004994: D3F30034 0CD2355A
	s_waitcnt lgkmcnt(0)                                       // 00000000499C: BF8CC07F
	v_mfma_f32_16x16x32_fp8_fp8 v[48:51], a[76:77], v[28:29], v[48:51]// 0000000049A0: D3F30030 0CC2394C
	v_mfma_f32_16x16x32_fp8_fp8 v[52:55], a[92:93], v[28:29], v[52:55]// 0000000049A8: D3F30034 0CD2395C
	v_mfma_f32_16x16x32_fp8_fp8 v[48:51], a[78:79], v[30:31], v[48:51]// 0000000049B0: D3F30030 0CC23D4E
	buffer_load_dwordx4 a[124:127], v115, s[16:19], 0 offen offset:1024// 0000000049B8: E05C1400 80847C73
	v_mfma_f32_16x16x32_fp8_fp8 v[52:55], a[94:95], v[30:31], v[52:55]// 0000000049C0: D3F30034 0CD23D5E
	s_addk_i32 s64, 0x100                                      // 0000000049C8: B7400100
	s_cmp_lt_i32 s64, s63                                      // 0000000049CC: BF043F40
	s_cbranch_scc0 label_1DF6                                  // 0000000049D0: BF841581
	s_waitcnt vmcnt(10)                                        // 0000000049D4: BF8C0F7A
	v_mfma_f32_16x16x32_fp8_fp8 v[16:19], a[32:33], v[8:9], 0  // 0000000049D8: D3F30010 0A021120
	s_add_u32 s12, s86, s69                                    // 0000000049E0: 800C4556
	s_addc_u32 s13, s87, 0                                     // 0000000049E4: 820D8057
	v_mfma_f32_16x16x32_fp8_fp8 v[16:19], a[34:35], v[10:11], v[16:19]// 0000000049E8: D3F30010 0C421522
	s_add_u32 s16, s88, s70                                    // 0000000049F0: 80104658
	s_addc_u32 s17, s89, 0                                     // 0000000049F4: 82118059
	v_mfma_f32_16x16x32_fp8_fp8 v[16:19], a[36:37], v[12:13], v[16:19]// 0000000049F8: D3F30010 0C421924
	buffer_load_dwordx4 a[0:3], v110, s[12:15], 0 offen        // 000000004A00: E05C1000 8083006E
	v_mfma_f32_16x16x32_fp8_fp8 v[16:19], a[38:39], v[14:15], v[16:19]// 000000004A08: D3F30010 0C421D26
	s_add_u32 s20, s90, s71                                    // 000000004A10: 8014475A
	s_addc_u32 s21, s91, 0                                     // 000000004A14: 8215805B
	v_mfma_f32_16x16x32_fp8_fp8 v[20:23], a[40:41], v[8:9], 0  // 000000004A18: D3F30014 0A021128
	s_add_u32 s24, s92, s71                                    // 000000004A20: 8018475C
	s_addc_u32 s25, s93, 0                                     // 000000004A24: 8219805D
	v_mfma_f32_16x16x32_fp8_fp8 v[20:23], a[42:43], v[10:11], v[20:23]// 000000004A28: D3F30014 0C52152A
	s_add_u32 s69, s69, 0x1000                                 // 000000004A30: 8045FF45 00001000
	s_add_u32 s70, s70, 0x8000                                 // 000000004A38: 8046FF46 00008000
	v_mfma_f32_16x16x32_fp8_fp8 v[20:23], a[44:45], v[12:13], v[20:23]// 000000004A40: D3F30014 0C52192C
	buffer_load_dwordx4 a[4:7], v111, s[12:15], 0 offen        // 000000004A48: E05C1000 8083046F
	v_mfma_f32_16x16x32_fp8_fp8 v[20:23], a[46:47], v[14:15], v[20:23]// 000000004A50: D3F30014 0C521D2E
	s_add_u32 s71, s71, 0x400                                  // 000000004A58: 8047FF47 00000400
	v_mfma_f32_16x16x32_fp8_fp8 v[24:27], a[48:49], v[8:9], 0  // 000000004A60: D3F30018 0A021130
	v_mfma_f32_16x16x32_fp8_fp8 v[24:27], a[50:51], v[10:11], v[24:27]// 000000004A68: D3F30018 0C621532
	v_mfma_f32_16x16x32_fp8_fp8 v[24:27], a[52:53], v[12:13], v[24:27]// 000000004A70: D3F30018 0C621934
	buffer_load_dwordx4 a[8:11], v110, s[12:15], 0 offen offset:1024// 000000004A78: E05C1400 8083086E
	v_mfma_f32_16x16x32_fp8_fp8 v[24:27], a[54:55], v[14:15], v[24:27]// 000000004A80: D3F30018 0C621D36
	v_mfma_f32_16x16x32_fp8_fp8 v[28:31], a[56:57], v[8:9], 0  // 000000004A88: D3F3001C 0A021138
	v_mfma_f32_16x16x32_fp8_fp8 v[28:31], a[58:59], v[10:11], v[28:31]// 000000004A90: D3F3001C 0C72153A
	v_mfma_f32_16x16x32_fp8_fp8 v[28:31], a[60:61], v[12:13], v[28:31]// 000000004A98: D3F3001C 0C72193C
	buffer_load_dwordx4 a[12:15], v111, s[12:15], 0 offen offset:1024// 000000004AA0: E05C1400 80830C6F
	v_mfma_f32_16x16x32_fp8_fp8 v[28:31], a[62:63], v[14:15], v[28:31]// 000000004AA8: D3F3001C 0C721D3E
	s_waitcnt vmcnt(12)                                        // 000000004AB0: BF8C0F7C
	v_pk_mul_f32 v[16:17], v[64:65], v[16:17]                  // 000000004AB4: D3B14010 18022140
	v_pk_mul_f32 v[18:19], v[64:65], v[18:19]                  // 000000004ABC: D3B14012 18022540
	v_mul_f32_dpp v16, v67, v16 row_newbcast:0 row_mask:0xf bank_mask:0xf// 000000004AC4: 0A2020FA FF015043
	v_mul_f32_dpp v17, v67, v17 row_newbcast:1 row_mask:0xf bank_mask:0xf// 000000004ACC: 0A2222FA FF015143
	v_mul_f32_dpp v18, v67, v18 row_newbcast:2 row_mask:0xf bank_mask:0xf// 000000004AD4: 0A2424FA FF015243
	v_mul_f32_dpp v19, v67, v19 row_newbcast:3 row_mask:0xf bank_mask:0xf// 000000004ADC: 0A2626FA FF015343
	v_pk_mul_f32 v[20:21], v[64:65], v[20:21]                  // 000000004AE4: D3B14014 18022940
	v_pk_mul_f32 v[22:23], v[64:65], v[22:23]                  // 000000004AEC: D3B14016 18022D40
	v_mul_f32_dpp v20, v67, v20 row_newbcast:4 row_mask:0xf bank_mask:0xf// 000000004AF4: 0A2828FA FF015443
	v_mul_f32_dpp v21, v67, v21 row_newbcast:5 row_mask:0xf bank_mask:0xf// 000000004AFC: 0A2A2AFA FF015543
	v_mul_f32_dpp v22, v67, v22 row_newbcast:6 row_mask:0xf bank_mask:0xf// 000000004B04: 0A2C2CFA FF015643
	v_mul_f32_dpp v23, v67, v23 row_newbcast:7 row_mask:0xf bank_mask:0xf// 000000004B0C: 0A2E2EFA FF015743
	v_pk_mul_f32 v[24:25], v[64:65], v[24:25]                  // 000000004B14: D3B14018 18023140
	v_pk_mul_f32 v[26:27], v[64:65], v[26:27]                  // 000000004B1C: D3B1401A 18023540
	v_mul_f32_dpp v24, v67, v24 row_newbcast:8 row_mask:0xf bank_mask:0xf// 000000004B24: 0A3030FA FF015843
	v_mul_f32_dpp v25, v67, v25 row_newbcast:9 row_mask:0xf bank_mask:0xf// 000000004B2C: 0A3232FA FF015943
	v_mul_f32_dpp v26, v67, v26 row_newbcast:10 row_mask:0xf bank_mask:0xf// 000000004B34: 0A3434FA FF015A43
	v_mul_f32_dpp v27, v67, v27 row_newbcast:11 row_mask:0xf bank_mask:0xf// 000000004B3C: 0A3636FA FF015B43
	v_pk_mul_f32 v[28:29], v[64:65], v[28:29]                  // 000000004B44: D3B1401C 18023940
	v_pk_mul_f32 v[30:31], v[64:65], v[30:31]                  // 000000004B4C: D3B1401E 18023D40
	v_mul_f32_dpp v28, v67, v28 row_newbcast:12 row_mask:0xf bank_mask:0xf// 000000004B54: 0A3838FA FF015C43
	v_mul_f32_dpp v29, v67, v29 row_newbcast:13 row_mask:0xf bank_mask:0xf// 000000004B5C: 0A3A3AFA FF015D43
	v_mul_f32_dpp v30, v67, v30 row_newbcast:14 row_mask:0xf bank_mask:0xf// 000000004B64: 0A3C3CFA FF015E43
	v_mul_f32_dpp v31, v67, v31 row_newbcast:15 row_mask:0xf bank_mask:0xf// 000000004B6C: 0A3E3EFA FF015F43
	buffer_load_dwordx4 a[16:19], v110, s[12:15], 0 offen offset:2048// 000000004B74: E05C1800 8083106E
	v_mov_b32_e32 v92, v16                                     // 000000004B7C: 7EB80310
	v_max3_f32 v92, v16, v17, v92                              // 000000004B80: D1D3005C 05722310
	v_max3_f32 v92, v18, v19, v92                              // 000000004B88: D1D3005C 05722712
	v_max3_f32 v92, v20, v21, v92                              // 000000004B90: D1D3005C 05722B14
	v_max3_f32 v92, v22, v23, v92                              // 000000004B98: D1D3005C 05722F16
	v_max3_f32 v92, v24, v25, v92                              // 000000004BA0: D1D3005C 05723318
	v_max3_f32 v92, v26, v27, v92                              // 000000004BA8: D1D3005C 0572371A
	v_max3_f32 v92, v28, v29, v92                              // 000000004BB0: D1D3005C 05723B1C
	v_max3_f32 v92, v30, v31, v92                              // 000000004BB8: D1D3005C 05723F1E
	ds_write_b32 v128, v92                                     // 000000004BC0: D81A0000 00005C80
	v_pk_mul_f32 v[56:57], v[94:95], v[56:57]                  // 000000004BC8: D3B14038 1802715E
	v_pk_mul_f32 v[58:59], v[94:95], v[58:59]                  // 000000004BD0: D3B1403A 1802755E
	v_pk_mul_f32 v[60:61], v[94:95], v[60:61]                  // 000000004BD8: D3B1403C 1802795E
	v_pk_mul_f32 v[62:63], v[94:95], v[62:63]                  // 000000004BE0: D3B1403E 18027D5E
	buffer_load_dwordx4 a[20:23], v111, s[12:15], 0 offen offset:2048// 000000004BE8: E05C1800 8083146F
	s_waitcnt lgkmcnt(0)                                       // 000000004BF0: BF8CC07F
	s_barrier                                                  // 000000004BF4: BF8A0000
	ds_read_b32 v76, v129                                      // 000000004BF8: D86C0000 4C000081
	ds_read_b32 v77, v129 offset:64                            // 000000004C00: D86C0040 4D000081
	ds_read_b32 v78, v129 offset:128                           // 000000004C08: D86C0080 4E000081
	ds_read_b32 v79, v129 offset:192                           // 000000004C10: D86C00C0 4F000081
	ds_read_b32 v80, v129 offset:256                           // 000000004C18: D86C0100 50000081
	ds_read_b32 v81, v129 offset:320                           // 000000004C20: D86C0140 51000081
	ds_read_b32 v82, v129 offset:384                           // 000000004C28: D86C0180 52000081
	ds_read_b32 v83, v129 offset:448                           // 000000004C30: D86C01C0 53000081
	ds_read_b32 v84, v129 offset:512                           // 000000004C38: D86C0200 54000081
	ds_read_b32 v85, v129 offset:576                           // 000000004C40: D86C0240 55000081
	ds_read_b32 v86, v129 offset:640                           // 000000004C48: D86C0280 56000081
	ds_read_b32 v87, v129 offset:704                           // 000000004C50: D86C02C0 57000081
	ds_read_b32 v88, v129 offset:768                           // 000000004C58: D86C0300 58000081
	ds_read_b32 v89, v129 offset:832                           // 000000004C60: D86C0340 59000081
	ds_read_b32 v90, v129 offset:896                           // 000000004C68: D86C0380 5A000081
	ds_read_b32 v91, v129 offset:960                           // 000000004C70: D86C03C0 5B000081
	buffer_load_dwordx4 a[28:31], v111, s[12:15], 0 offen offset:3072// 000000004C78: E05C1C00 80831C6F
	v_pk_mul_f32 v[48:49], v[70:71], v[48:49]                  // 000000004C80: D3B14030 18026146
	v_pk_mul_f32 v[50:51], v[70:71], v[50:51]                  // 000000004C88: D3B14032 18026546
	v_pk_mul_f32 v[52:53], v[70:71], v[52:53]                  // 000000004C90: D3B14034 18026946
	v_pk_mul_f32 v[54:55], v[70:71], v[54:55]                  // 000000004C98: D3B14036 18026D46
	buffer_load_dwordx4 a[24:27], v110, s[12:15], 0 offen offset:3072// 000000004CA0: E05C1C00 8083186E
	s_waitcnt lgkmcnt(0)                                       // 000000004CA8: BF8CC07F
	v_max3_f32 v92, v76, v77, v92                              // 000000004CAC: D1D3005C 05729B4C
	v_max3_f32 v92, v78, v79, v92                              // 000000004CB4: D1D3005C 05729F4E
	v_max3_f32 v92, v80, v81, v92                              // 000000004CBC: D1D3005C 0572A350
	v_max3_f32 v92, v82, v83, v92                              // 000000004CC4: D1D3005C 0572A752
	v_max3_f32 v92, v84, v85, v92                              // 000000004CCC: D1D3005C 0572AB54
	v_max3_f32 v92, v86, v87, v92                              // 000000004CD4: D1D3005C 0572AF56
	v_max3_f32 v92, v88, v89, v92                              // 000000004CDC: D1D3005C 0572B358
	v_max3_f32 v92, v90, v91, v92                              // 000000004CE4: D1D3005C 0572B75A
	v_max_f32_e32 v97, v92, v96                                // 000000004CEC: 16C2C15C
	v_mul_f32_e64 v72, -s46, v97                               // 000000004CF0: D1050048 2002C22E
	v_mov_b32_e32 v73, v72                                     // 000000004CF8: 7E920348
	v_pk_fma_f32 v[16:17], v[16:17], s[46:47], v[72:73]        // 000000004CFC: D3B04010 1D205D10
	v_pk_fma_f32 v[18:19], v[18:19], s[46:47], v[72:73]        // 000000004D04: D3B04012 1D205D12
	v_exp_f32_e32 v16, v16                                     // 000000004D0C: 7E204110
	v_exp_f32_e32 v17, v17                                     // 000000004D10: 7E224111
	v_exp_f32_e32 v18, v18                                     // 000000004D14: 7E244112
	v_exp_f32_e32 v19, v19                                     // 000000004D18: 7E264113
	v_pk_fma_f32 v[20:21], v[20:21], s[46:47], v[72:73]        // 000000004D1C: D3B04014 1D205D14
	v_pk_fma_f32 v[22:23], v[22:23], s[46:47], v[72:73]        // 000000004D24: D3B04016 1D205D16
	v_exp_f32_e32 v20, v20                                     // 000000004D2C: 7E284114
	v_exp_f32_e32 v21, v21                                     // 000000004D30: 7E2A4115
	v_exp_f32_e32 v22, v22                                     // 000000004D34: 7E2C4116
	v_exp_f32_e32 v23, v23                                     // 000000004D38: 7E2E4117
	v_pk_fma_f32 v[24:25], v[24:25], s[46:47], v[72:73]        // 000000004D3C: D3B04018 1D205D18
	v_pk_fma_f32 v[26:27], v[26:27], s[46:47], v[72:73]        // 000000004D44: D3B0401A 1D205D1A
	v_exp_f32_e32 v24, v24                                     // 000000004D4C: 7E304118
	v_exp_f32_e32 v25, v25                                     // 000000004D50: 7E324119
	v_exp_f32_e32 v26, v26                                     // 000000004D54: 7E34411A
	v_exp_f32_e32 v27, v27                                     // 000000004D58: 7E36411B
	v_pk_fma_f32 v[28:29], v[28:29], s[46:47], v[72:73]        // 000000004D5C: D3B0401C 1D205D1C
	v_pk_fma_f32 v[30:31], v[30:31], s[46:47], v[72:73]        // 000000004D64: D3B0401E 1D205D1E
	v_exp_f32_e32 v28, v28                                     // 000000004D6C: 7E38411C
	v_exp_f32_e32 v29, v29                                     // 000000004D70: 7E3A411D
	v_exp_f32_e32 v30, v30                                     // 000000004D74: 7E3C411E
	v_exp_f32_e32 v31, v31                                     // 000000004D78: 7E3E411F
	v_mul_f32_dpp v32, v69, v16 row_newbcast:0 row_mask:0xf bank_mask:0xf// 000000004D7C: 0A4020FA FF015045
	v_mul_f32_dpp v33, v69, v17 row_newbcast:1 row_mask:0xf bank_mask:0xf// 000000004D84: 0A4222FA FF015145
	v_mul_f32_dpp v34, v69, v18 row_newbcast:2 row_mask:0xf bank_mask:0xf// 000000004D8C: 0A4424FA FF015245
	v_mul_f32_dpp v35, v69, v19 row_newbcast:3 row_mask:0xf bank_mask:0xf// 000000004D94: 0A4626FA FF015345
	v_mul_f32_dpp v36, v69, v20 row_newbcast:4 row_mask:0xf bank_mask:0xf// 000000004D9C: 0A4828FA FF015445
	v_mul_f32_dpp v37, v69, v21 row_newbcast:5 row_mask:0xf bank_mask:0xf// 000000004DA4: 0A4A2AFA FF015545
	v_mul_f32_dpp v38, v69, v22 row_newbcast:6 row_mask:0xf bank_mask:0xf// 000000004DAC: 0A4C2CFA FF015645
	v_mul_f32_dpp v39, v69, v23 row_newbcast:7 row_mask:0xf bank_mask:0xf// 000000004DB4: 0A4E2EFA FF015745
	v_mul_f32_dpp v40, v69, v24 row_newbcast:8 row_mask:0xf bank_mask:0xf// 000000004DBC: 0A5030FA FF015845
	v_mul_f32_dpp v41, v69, v25 row_newbcast:9 row_mask:0xf bank_mask:0xf// 000000004DC4: 0A5232FA FF015945
	v_mul_f32_dpp v42, v69, v26 row_newbcast:10 row_mask:0xf bank_mask:0xf// 000000004DCC: 0A5434FA FF015A45
	v_mul_f32_dpp v43, v69, v27 row_newbcast:11 row_mask:0xf bank_mask:0xf// 000000004DD4: 0A5636FA FF015B45
	v_mul_f32_dpp v44, v69, v28 row_newbcast:12 row_mask:0xf bank_mask:0xf// 000000004DDC: 0A5838FA FF015C45
	v_mul_f32_dpp v45, v69, v29 row_newbcast:13 row_mask:0xf bank_mask:0xf// 000000004DE4: 0A5A3AFA FF015D45
	v_mul_f32_dpp v46, v69, v30 row_newbcast:14 row_mask:0xf bank_mask:0xf// 000000004DEC: 0A5C3CFA FF015E45
	v_mul_f32_dpp v47, v69, v31 row_newbcast:15 row_mask:0xf bank_mask:0xf// 000000004DF4: 0A5E3EFA FF015F45
	v_mov_b32_e32 v92, 0x358637bd                              // 000000004DFC: 7EB802FF 358637BD
	v_max3_f32 v92, |v32|, |v33|, v92                          // 000000004E04: D1D3035C 05724320
	v_max3_f32 v92, |v34|, |v35|, v92                          // 000000004E0C: D1D3035C 05724722
	v_max3_f32 v92, |v36|, |v37|, v92                          // 000000004E14: D1D3035C 05724B24
	v_max3_f32 v92, |v38|, |v39|, v92                          // 000000004E1C: D1D3035C 05724F26
	v_max3_f32 v92, |v40|, |v41|, v92                          // 000000004E24: D1D3035C 05725328
	v_max3_f32 v92, |v42|, |v43|, v92                          // 000000004E2C: D1D3035C 0572572A
	v_max3_f32 v92, |v44|, |v45|, v92                          // 000000004E34: D1D3035C 05725B2C
	v_max3_f32 v92, |v46|, |v47|, v92                          // 000000004E3C: D1D3035C 05725F2E
	ds_write_b32 v128, v92 offset:1280                         // 000000004E44: D81A0500 00005C80
	buffer_load_dword v66, v116, s[20:23], 0 offen             // 000000004E4C: E0501000 80054274
	v_sub_f32_e32 v94, v96, v97                                // 000000004E54: 04BCC360
	v_cmp_eq_u32_e64 s[98:99], v107, v96                       // 000000004E58: D0CA0062 0002C16B
	s_nop 0                                                    // 000000004E60: BF800000
	v_cndmask_b32_e64 v94, v94, 0, s[98:99]                    // 000000004E64: D100005E 0189015E
	v_mov_b32_e32 v96, v97                                     // 000000004E6C: 7EC00361
	v_mul_f32_e32 v94, s46, v94                                // 000000004E70: 0ABCBC2E
	v_exp_f32_e32 v94, v94                                     // 000000004E74: 7EBC415E
	s_nop 0                                                    // 000000004E78: BF800000
	v_mov_b32_e32 v95, v94                                     // 000000004E7C: 7EBE035E
	buffer_load_dword v68, v117, s[24:27], 0 offen             // 000000004E80: E0501000 80064475
	s_waitcnt lgkmcnt(0)                                       // 000000004E88: BF8CC07F
	s_barrier                                                  // 000000004E8C: BF8A0000
	ds_read_b32 v76, v129 offset:1280                          // 000000004E90: D86C0500 4C000081
	ds_read_b32 v77, v129 offset:1344                          // 000000004E98: D86C0540 4D000081
	ds_read_b32 v78, v129 offset:1408                          // 000000004EA0: D86C0580 4E000081
	ds_read_b32 v79, v129 offset:1472                          // 000000004EA8: D86C05C0 4F000081
	ds_read_b32 v80, v129 offset:1536                          // 000000004EB0: D86C0600 50000081
	ds_read_b32 v81, v129 offset:1600                          // 000000004EB8: D86C0640 51000081
	ds_read_b32 v82, v129 offset:1664                          // 000000004EC0: D86C0680 52000081
	ds_read_b32 v83, v129 offset:1728                          // 000000004EC8: D86C06C0 53000081
	ds_read_b32 v84, v129 offset:1792                          // 000000004ED0: D86C0700 54000081
	ds_read_b32 v85, v129 offset:1856                          // 000000004ED8: D86C0740 55000081
	ds_read_b32 v86, v129 offset:1920                          // 000000004EE0: D86C0780 56000081
	ds_read_b32 v87, v129 offset:1984                          // 000000004EE8: D86C07C0 57000081
	ds_read_b32 v88, v129 offset:2048                          // 000000004EF0: D86C0800 58000081
	ds_read_b32 v89, v129 offset:2112                          // 000000004EF8: D86C0840 59000081
	ds_read_b32 v90, v129 offset:2176                          // 000000004F00: D86C0880 5A000081
	ds_read_b32 v91, v129 offset:2240                          // 000000004F08: D86C08C0 5B000081
	buffer_load_dwordx4 a[64:67], v112, s[16:19], 0 offen      // 000000004F10: E05C1000 80844070
	v_mul_f32_e32 v98, v94, v98                                // 000000004F18: 0AC4C55E
	v_add_f32_e32 v98, v16, v98                                // 000000004F1C: 02C4C510
	v_add_f32_e32 v98, v17, v98                                // 000000004F20: 02C4C511
	v_add_f32_e32 v98, v18, v98                                // 000000004F24: 02C4C512
	v_add_f32_e32 v98, v19, v98                                // 000000004F28: 02C4C513
	v_add_f32_e32 v98, v20, v98                                // 000000004F2C: 02C4C514
	v_add_f32_e32 v98, v21, v98                                // 000000004F30: 02C4C515
	v_add_f32_e32 v98, v22, v98                                // 000000004F34: 02C4C516
	v_add_f32_e32 v98, v23, v98                                // 000000004F38: 02C4C517
	v_add_f32_e32 v98, v24, v98                                // 000000004F3C: 02C4C518
	v_add_f32_e32 v98, v25, v98                                // 000000004F40: 02C4C519
	v_add_f32_e32 v98, v26, v98                                // 000000004F44: 02C4C51A
	v_add_f32_e32 v98, v27, v98                                // 000000004F48: 02C4C51B
	v_add_f32_e32 v98, v28, v98                                // 000000004F4C: 02C4C51C
	v_add_f32_e32 v98, v29, v98                                // 000000004F50: 02C4C51D
	v_add_f32_e32 v98, v30, v98                                // 000000004F54: 02C4C51E
	v_add_f32_e32 v98, v31, v98                                // 000000004F58: 02C4C51F
	buffer_load_dwordx4 a[68:71], v113, s[16:19], 0 offen      // 000000004F5C: E05C1000 80844471
	s_waitcnt lgkmcnt(0)                                       // 000000004F64: BF8CC07F
	v_max3_f32 v92, v76, v77, v92                              // 000000004F68: D1D3005C 05729B4C
	v_max3_f32 v92, v78, v79, v92                              // 000000004F70: D1D3005C 05729F4E
	v_max3_f32 v92, v80, v81, v92                              // 000000004F78: D1D3005C 0572A350
	v_max3_f32 v92, v82, v83, v92                              // 000000004F80: D1D3005C 0572A752
	v_max3_f32 v92, v84, v85, v92                              // 000000004F88: D1D3005C 0572AB54
	v_max3_f32 v92, v86, v87, v92                              // 000000004F90: D1D3005C 0572AF56
	v_max3_f32 v92, v88, v89, v92                              // 000000004F98: D1D3005C 0572B358
	v_max3_f32 v92, v90, v91, v92                              // 000000004FA0: D1D3005C 0572B75A
	v_rcp_f32_e32 v92, v92                                     // 000000004FA8: 7EB8455C
	s_nop 0                                                    // 000000004FAC: BF800000
	v_mul_f32_e32 v92, 0x43700000, v92                         // 000000004FB0: 0AB8B8FF 43700000
	v_mov_b32_e32 v93, v92                                     // 000000004FB8: 7EBA035C
	v_pk_mul_f32 v[16:17], v[92:93], v[32:33]                  // 000000004FBC: D3B14010 1802415C
	v_pk_mul_f32 v[18:19], v[92:93], v[34:35]                  // 000000004FC4: D3B14012 1802455C
	v_pk_mul_f32 v[20:21], v[92:93], v[36:37]                  // 000000004FCC: D3B14014 1802495C
	v_pk_mul_f32 v[22:23], v[92:93], v[38:39]                  // 000000004FD4: D3B14016 18024D5C
	v_pk_mul_f32 v[24:25], v[92:93], v[40:41]                  // 000000004FDC: D3B14018 1802515C
	v_pk_mul_f32 v[26:27], v[92:93], v[42:43]                  // 000000004FE4: D3B1401A 1802555C
	v_pk_mul_f32 v[28:29], v[92:93], v[44:45]                  // 000000004FEC: D3B1401C 1802595C
	v_pk_mul_f32 v[30:31], v[92:93], v[46:47]                  // 000000004FF4: D3B1401E 18025D5C
	v_cvt_pk_fp8_f32 v16, v16, v17                             // 000000004FFC: D2A20010 00022310
	v_cvt_pk_fp8_f32 v16, v18, v19 op_sel:[0,0,1]              // 000000005004: D2A24010 00022712
	v_cvt_pk_fp8_f32 v17, v20, v21                             // 00000000500C: D2A20011 00022B14
	v_cvt_pk_fp8_f32 v17, v22, v23 op_sel:[0,0,1]              // 000000005014: D2A24011 00022F16
	v_cvt_pk_fp8_f32 v18, v24, v25                             // 00000000501C: D2A20012 00023318
	v_cvt_pk_fp8_f32 v18, v26, v27 op_sel:[0,0,1]              // 000000005024: D2A24012 0002371A
	v_cvt_pk_fp8_f32 v19, v28, v29                             // 00000000502C: D2A20013 00023B1C
	v_cvt_pk_fp8_f32 v19, v30, v31 op_sel:[0,0,1]              // 000000005034: D2A24013 00023F1E
	ds_write_b32 v130, v16 offset:2560                         // 00000000503C: D81A0A00 00001082
	ds_write_b32 v130, v17 offset:3584                         // 000000005044: D81A0E00 00001182
	ds_write_b32 v130, v18 offset:4608                         // 00000000504C: D81A1200 00001282
	ds_write_b32 v130, v19 offset:5632                         // 000000005054: D81A1600 00001382
	v_rcp_f32_e32 v70, v92                                     // 00000000505C: 7E8C455C
	s_nop 0                                                    // 000000005060: BF800000
	v_mov_b32_e32 v71, v70                                     // 000000005064: 7E8E0346
	buffer_load_dwordx4 a[72:75], v114, s[16:19], 0 offen      // 000000005068: E05C1000 80844872
	v_pk_add_f32 v[56:57], v[56:57], v[48:49]                  // 000000005070: D3B24038 18026138
	v_pk_add_f32 v[58:59], v[58:59], v[50:51]                  // 000000005078: D3B2403A 1802653A
	v_pk_add_f32 v[60:61], v[60:61], v[52:53]                  // 000000005080: D3B2403C 1802693C
	v_pk_add_f32 v[62:63], v[62:63], v[54:55]                  // 000000005088: D3B2403E 18026D3E
	s_waitcnt lgkmcnt(0)                                       // 000000005090: BF8CC07F
	s_barrier                                                  // 000000005094: BF8A0000
	ds_read_b128 v[16:19], v131 offset:2560                    // 000000005098: D9FE0A00 10000083
	ds_read_b128 v[20:23], v131 offset:3584                    // 0000000050A0: D9FE0E00 14000083
	ds_read_b128 v[24:27], v131 offset:4608                    // 0000000050A8: D9FE1200 18000083
	ds_read_b128 v[28:31], v131 offset:5632                    // 0000000050B0: D9FE1600 1C000083
	buffer_load_dwordx4 a[76:79], v115, s[16:19], 0 offen      // 0000000050B8: E05C1000 80844C73
	s_waitcnt vmcnt(14)                                        // 0000000050C0: BF8C0F7E
	s_waitcnt lgkmcnt(3)                                       // 0000000050C4: BF8CC37F
	v_mfma_f32_16x16x32_fp8_fp8 v[48:51], a[96:97], v[16:17], 0// 0000000050C8: D3F30030 0A022160
	v_mfma_f32_16x16x32_fp8_fp8 v[52:55], a[112:113], v[16:17], 0// 0000000050D0: D3F30034 0A022170
	v_mfma_f32_16x16x32_fp8_fp8 v[48:51], a[98:99], v[18:19], v[48:51]// 0000000050D8: D3F30030 0CC22562
	buffer_load_dwordx4 a[80:83], v112, s[16:19], 0 offen offset:1024// 0000000050E0: E05C1400 80845070
	v_mfma_f32_16x16x32_fp8_fp8 v[52:55], a[114:115], v[18:19], v[52:55]// 0000000050E8: D3F30034 0CD22572
	s_waitcnt lgkmcnt(2)                                       // 0000000050F0: BF8CC27F
	v_mfma_f32_16x16x32_fp8_fp8 v[48:51], a[100:101], v[20:21], v[48:51]// 0000000050F4: D3F30030 0CC22964
	v_mfma_f32_16x16x32_fp8_fp8 v[52:55], a[116:117], v[20:21], v[52:55]// 0000000050FC: D3F30034 0CD22974
	v_mfma_f32_16x16x32_fp8_fp8 v[48:51], a[102:103], v[22:23], v[48:51]// 000000005104: D3F30030 0CC22D66
	buffer_load_dwordx4 a[84:87], v113, s[16:19], 0 offen offset:1024// 00000000510C: E05C1400 80845471
	v_mfma_f32_16x16x32_fp8_fp8 v[52:55], a[118:119], v[22:23], v[52:55]// 000000005114: D3F30034 0CD22D76
	s_waitcnt lgkmcnt(1)                                       // 00000000511C: BF8CC17F
	v_mfma_f32_16x16x32_fp8_fp8 v[48:51], a[104:105], v[24:25], v[48:51]// 000000005120: D3F30030 0CC23168
	v_mfma_f32_16x16x32_fp8_fp8 v[52:55], a[120:121], v[24:25], v[52:55]// 000000005128: D3F30034 0CD23178
	v_mfma_f32_16x16x32_fp8_fp8 v[48:51], a[106:107], v[26:27], v[48:51]// 000000005130: D3F30030 0CC2356A
	buffer_load_dwordx4 a[88:91], v114, s[16:19], 0 offen offset:1024// 000000005138: E05C1400 80845872
	v_mfma_f32_16x16x32_fp8_fp8 v[52:55], a[122:123], v[26:27], v[52:55]// 000000005140: D3F30034 0CD2357A
	s_waitcnt lgkmcnt(0)                                       // 000000005148: BF8CC07F
	v_mfma_f32_16x16x32_fp8_fp8 v[48:51], a[108:109], v[28:29], v[48:51]// 00000000514C: D3F30030 0CC2396C
	v_mfma_f32_16x16x32_fp8_fp8 v[52:55], a[124:125], v[28:29], v[52:55]// 000000005154: D3F30034 0CD2397C
	v_mfma_f32_16x16x32_fp8_fp8 v[48:51], a[110:111], v[30:31], v[48:51]// 00000000515C: D3F30030 0CC23D6E
	buffer_load_dwordx4 a[92:95], v115, s[16:19], 0 offen offset:1024// 000000005164: E05C1400 80845C73
	v_mfma_f32_16x16x32_fp8_fp8 v[52:55], a[126:127], v[30:31], v[52:55]// 00000000516C: D3F30034 0CD23D7E
	s_addk_i32 s64, 0x100                                      // 000000005174: B7400100
	s_branch label_02AB                                        // 000000005178: BF82F84C

000000000000517c <label_0A5F>:
	s_cmp_lt_i32 s64, s63                                      // 00000000517C: BF043F40
	s_cbranch_scc0 label_1213                                  // 000000005180: BF8407B2
	s_waitcnt vmcnt(10)                                        // 000000005184: BF8C0F7A
	v_mfma_f32_16x16x32_fp8_fp8 v[16:19], a[0:1], v[8:9], 0    // 000000005188: D3F30010 0A021100
	s_add_u32 s12, s86, s69                                    // 000000005190: 800C4556
	s_addc_u32 s13, s87, 0                                     // 000000005194: 820D8057
	v_mfma_f32_16x16x32_fp8_fp8 v[16:19], a[2:3], v[10:11], v[16:19]// 000000005198: D3F30010 0C421502
	s_add_u32 s16, s88, s70                                    // 0000000051A0: 80104658
	s_addc_u32 s17, s89, 0                                     // 0000000051A4: 82118059
	v_mfma_f32_16x16x32_fp8_fp8 v[16:19], a[4:5], v[12:13], v[16:19]// 0000000051A8: D3F30010 0C421904
	buffer_load_dwordx4 a[32:35], v110, s[12:15], 0 offen      // 0000000051B0: E05C1000 8083206E
	v_mfma_f32_16x16x32_fp8_fp8 v[16:19], a[6:7], v[14:15], v[16:19]// 0000000051B8: D3F30010 0C421D06
	s_add_u32 s20, s90, s71                                    // 0000000051C0: 8014475A
	s_addc_u32 s21, s91, 0                                     // 0000000051C4: 8215805B
	v_mfma_f32_16x16x32_fp8_fp8 v[20:23], a[8:9], v[8:9], 0    // 0000000051C8: D3F30014 0A021108
	s_add_u32 s24, s92, s71                                    // 0000000051D0: 8018475C
	s_addc_u32 s25, s93, 0                                     // 0000000051D4: 8219805D
	v_mfma_f32_16x16x32_fp8_fp8 v[20:23], a[10:11], v[10:11], v[20:23]// 0000000051D8: D3F30014 0C52150A
	s_add_u32 s69, s69, 0x1000                                 // 0000000051E0: 8045FF45 00001000
	s_add_u32 s70, s70, 0x8000                                 // 0000000051E8: 8046FF46 00008000
	v_mfma_f32_16x16x32_fp8_fp8 v[20:23], a[12:13], v[12:13], v[20:23]// 0000000051F0: D3F30014 0C52190C
	buffer_load_dwordx4 a[36:39], v111, s[12:15], 0 offen      // 0000000051F8: E05C1000 8083246F
	v_mfma_f32_16x16x32_fp8_fp8 v[20:23], a[14:15], v[14:15], v[20:23]// 000000005200: D3F30014 0C521D0E
	s_add_u32 s71, s71, 0x400                                  // 000000005208: 8047FF47 00000400
	v_mfma_f32_16x16x32_fp8_fp8 v[24:27], a[16:17], v[8:9], 0  // 000000005210: D3F30018 0A021110
	v_mfma_f32_16x16x32_fp8_fp8 v[24:27], a[18:19], v[10:11], v[24:27]// 000000005218: D3F30018 0C621512
	v_mfma_f32_16x16x32_fp8_fp8 v[24:27], a[20:21], v[12:13], v[24:27]// 000000005220: D3F30018 0C621914
	buffer_load_dwordx4 a[40:43], v110, s[12:15], 0 offen offset:1024// 000000005228: E05C1400 8083286E
	v_mfma_f32_16x16x32_fp8_fp8 v[24:27], a[22:23], v[14:15], v[24:27]// 000000005230: D3F30018 0C621D16
	v_mfma_f32_16x16x32_fp8_fp8 v[28:31], a[24:25], v[8:9], 0  // 000000005238: D3F3001C 0A021118
	v_mfma_f32_16x16x32_fp8_fp8 v[28:31], a[26:27], v[10:11], v[28:31]// 000000005240: D3F3001C 0C72151A
	v_mfma_f32_16x16x32_fp8_fp8 v[28:31], a[28:29], v[12:13], v[28:31]// 000000005248: D3F3001C 0C72191C
	buffer_load_dwordx4 a[44:47], v111, s[12:15], 0 offen offset:1024// 000000005250: E05C1400 80832C6F
	v_mfma_f32_16x16x32_fp8_fp8 v[28:31], a[30:31], v[14:15], v[28:31]// 000000005258: D3F3001C 0C721D1E
	s_waitcnt vmcnt(12)                                        // 000000005260: BF8C0F7C
	v_pk_mul_f32 v[16:17], v[64:65], v[16:17]                  // 000000005264: D3B14010 18022140
	v_pk_mul_f32 v[18:19], v[64:65], v[18:19]                  // 00000000526C: D3B14012 18022540
	v_mul_f32_dpp v16, v66, v16 row_newbcast:0 row_mask:0xf bank_mask:0xf// 000000005274: 0A2020FA FF015042
	v_mul_f32_dpp v17, v66, v17 row_newbcast:1 row_mask:0xf bank_mask:0xf// 00000000527C: 0A2222FA FF015142
	v_mul_f32_dpp v18, v66, v18 row_newbcast:2 row_mask:0xf bank_mask:0xf// 000000005284: 0A2424FA FF015242
	v_mul_f32_dpp v19, v66, v19 row_newbcast:3 row_mask:0xf bank_mask:0xf// 00000000528C: 0A2626FA FF015342
	v_pk_mul_f32 v[20:21], v[64:65], v[20:21]                  // 000000005294: D3B14014 18022940
	v_pk_mul_f32 v[22:23], v[64:65], v[22:23]                  // 00000000529C: D3B14016 18022D40
	v_mul_f32_dpp v20, v66, v20 row_newbcast:4 row_mask:0xf bank_mask:0xf// 0000000052A4: 0A2828FA FF015442
	v_mul_f32_dpp v21, v66, v21 row_newbcast:5 row_mask:0xf bank_mask:0xf// 0000000052AC: 0A2A2AFA FF015542
	v_mul_f32_dpp v22, v66, v22 row_newbcast:6 row_mask:0xf bank_mask:0xf// 0000000052B4: 0A2C2CFA FF015642
	v_mul_f32_dpp v23, v66, v23 row_newbcast:7 row_mask:0xf bank_mask:0xf// 0000000052BC: 0A2E2EFA FF015742
	v_pk_mul_f32 v[24:25], v[64:65], v[24:25]                  // 0000000052C4: D3B14018 18023140
	v_pk_mul_f32 v[26:27], v[64:65], v[26:27]                  // 0000000052CC: D3B1401A 18023540
	v_mul_f32_dpp v24, v66, v24 row_newbcast:8 row_mask:0xf bank_mask:0xf// 0000000052D4: 0A3030FA FF015842
	v_mul_f32_dpp v25, v66, v25 row_newbcast:9 row_mask:0xf bank_mask:0xf// 0000000052DC: 0A3232FA FF015942
	v_mul_f32_dpp v26, v66, v26 row_newbcast:10 row_mask:0xf bank_mask:0xf// 0000000052E4: 0A3434FA FF015A42
	v_mul_f32_dpp v27, v66, v27 row_newbcast:11 row_mask:0xf bank_mask:0xf// 0000000052EC: 0A3636FA FF015B42
	v_pk_mul_f32 v[28:29], v[64:65], v[28:29]                  // 0000000052F4: D3B1401C 18023940
	v_pk_mul_f32 v[30:31], v[64:65], v[30:31]                  // 0000000052FC: D3B1401E 18023D40
	v_mul_f32_dpp v28, v66, v28 row_newbcast:12 row_mask:0xf bank_mask:0xf// 000000005304: 0A3838FA FF015C42
	v_mul_f32_dpp v29, v66, v29 row_newbcast:13 row_mask:0xf bank_mask:0xf// 00000000530C: 0A3A3AFA FF015D42
	v_mul_f32_dpp v30, v66, v30 row_newbcast:14 row_mask:0xf bank_mask:0xf// 000000005314: 0A3C3CFA FF015E42
	v_mul_f32_dpp v31, v66, v31 row_newbcast:15 row_mask:0xf bank_mask:0xf// 00000000531C: 0A3E3EFA FF015F42
	buffer_load_dwordx4 a[48:51], v110, s[12:15], 0 offen offset:2048// 000000005324: E05C1800 8083306E
	v_mov_b32_e32 v92, v16                                     // 00000000532C: 7EB80310
	v_max3_f32 v92, v16, v17, v92                              // 000000005330: D1D3005C 05722310
	v_max3_f32 v92, v18, v19, v92                              // 000000005338: D1D3005C 05722712
	v_max3_f32 v92, v20, v21, v92                              // 000000005340: D1D3005C 05722B14
	v_max3_f32 v92, v22, v23, v92                              // 000000005348: D1D3005C 05722F16
	v_max3_f32 v92, v24, v25, v92                              // 000000005350: D1D3005C 05723318
	v_max3_f32 v92, v26, v27, v92                              // 000000005358: D1D3005C 0572371A
	v_max3_f32 v92, v28, v29, v92                              // 000000005360: D1D3005C 05723B1C
	v_max3_f32 v92, v30, v31, v92                              // 000000005368: D1D3005C 05723F1E
	ds_write_b32 v128, v92                                     // 000000005370: D81A0000 00005C80
	v_pk_mul_f32 v[56:57], v[94:95], v[56:57]                  // 000000005378: D3B14038 1802715E
	v_pk_mul_f32 v[58:59], v[94:95], v[58:59]                  // 000000005380: D3B1403A 1802755E
	v_pk_mul_f32 v[60:61], v[94:95], v[60:61]                  // 000000005388: D3B1403C 1802795E
	v_pk_mul_f32 v[62:63], v[94:95], v[62:63]                  // 000000005390: D3B1403E 18027D5E
	buffer_load_dwordx4 a[52:55], v111, s[12:15], 0 offen offset:2048// 000000005398: E05C1800 8083346F
	s_waitcnt lgkmcnt(0)                                       // 0000000053A0: BF8CC07F
	s_barrier                                                  // 0000000053A4: BF8A0000
	v_pk_mul_f32 v[48:49], v[70:71], v[48:49]                  // 0000000053A8: D3B14030 18026146
	v_pk_mul_f32 v[50:51], v[70:71], v[50:51]                  // 0000000053B0: D3B14032 18026546
	v_pk_mul_f32 v[52:53], v[70:71], v[52:53]                  // 0000000053B8: D3B14034 18026946
	v_pk_mul_f32 v[54:55], v[70:71], v[54:55]                  // 0000000053C0: D3B14036 18026D46
	buffer_load_dwordx4 a[56:59], v110, s[12:15], 0 offen offset:3072// 0000000053C8: E05C1C00 8083386E
	ds_read_b32 v76, v129                                      // 0000000053D0: D86C0000 4C000081
	ds_read_b32 v77, v129 offset:64                            // 0000000053D8: D86C0040 4D000081
	ds_read_b32 v78, v129 offset:128                           // 0000000053E0: D86C0080 4E000081
	ds_read_b32 v79, v129 offset:192                           // 0000000053E8: D86C00C0 4F000081
	ds_read_b32 v80, v129 offset:256                           // 0000000053F0: D86C0100 50000081
	ds_read_b32 v81, v129 offset:320                           // 0000000053F8: D86C0140 51000081
	ds_read_b32 v82, v129 offset:384                           // 000000005400: D86C0180 52000081
	ds_read_b32 v83, v129 offset:448                           // 000000005408: D86C01C0 53000081
	ds_read_b32 v84, v129 offset:512                           // 000000005410: D86C0200 54000081
	ds_read_b32 v85, v129 offset:576                           // 000000005418: D86C0240 55000081
	ds_read_b32 v86, v129 offset:640                           // 000000005420: D86C0280 56000081
	ds_read_b32 v87, v129 offset:704                           // 000000005428: D86C02C0 57000081
	ds_read_b32 v88, v129 offset:768                           // 000000005430: D86C0300 58000081
	ds_read_b32 v89, v129 offset:832                           // 000000005438: D86C0340 59000081
	ds_read_b32 v90, v129 offset:896                           // 000000005440: D86C0380 5A000081
	ds_read_b32 v91, v129 offset:960                           // 000000005448: D86C03C0 5B000081
	buffer_load_dwordx4 a[60:63], v111, s[12:15], 0 offen offset:3072// 000000005450: E05C1C00 80833C6F
	s_waitcnt lgkmcnt(0)                                       // 000000005458: BF8CC07F
	v_max3_f32 v92, v76, v77, v92                              // 00000000545C: D1D3005C 05729B4C
	v_max3_f32 v92, v78, v79, v92                              // 000000005464: D1D3005C 05729F4E
	v_max3_f32 v92, v80, v81, v92                              // 00000000546C: D1D3005C 0572A350
	v_max3_f32 v92, v82, v83, v92                              // 000000005474: D1D3005C 0572A752
	v_max3_f32 v92, v84, v85, v92                              // 00000000547C: D1D3005C 0572AB54
	v_max3_f32 v92, v86, v87, v92                              // 000000005484: D1D3005C 0572AF56
	v_max3_f32 v92, v88, v89, v92                              // 00000000548C: D1D3005C 0572B358
	v_max3_f32 v92, v90, v91, v92                              // 000000005494: D1D3005C 0572B75A
	v_max_f32_e32 v97, v92, v96                                // 00000000549C: 16C2C15C
	v_mul_f32_e64 v72, -s46, v97                               // 0000000054A0: D1050048 2002C22E
	v_mov_b32_e32 v73, v72                                     // 0000000054A8: 7E920348
	v_pk_fma_f32 v[16:17], v[16:17], s[46:47], v[72:73]        // 0000000054AC: D3B04010 1D205D10
	v_pk_fma_f32 v[18:19], v[18:19], s[46:47], v[72:73]        // 0000000054B4: D3B04012 1D205D12
	v_exp_f32_e32 v16, v16                                     // 0000000054BC: 7E204110
	v_exp_f32_e32 v17, v17                                     // 0000000054C0: 7E224111
	v_exp_f32_e32 v18, v18                                     // 0000000054C4: 7E244112
	v_exp_f32_e32 v19, v19                                     // 0000000054C8: 7E264113
	v_pk_fma_f32 v[20:21], v[20:21], s[46:47], v[72:73]        // 0000000054CC: D3B04014 1D205D14
	v_pk_fma_f32 v[22:23], v[22:23], s[46:47], v[72:73]        // 0000000054D4: D3B04016 1D205D16
	v_exp_f32_e32 v20, v20                                     // 0000000054DC: 7E284114
	v_exp_f32_e32 v21, v21                                     // 0000000054E0: 7E2A4115
	v_exp_f32_e32 v22, v22                                     // 0000000054E4: 7E2C4116
	v_exp_f32_e32 v23, v23                                     // 0000000054E8: 7E2E4117
	v_pk_fma_f32 v[24:25], v[24:25], s[46:47], v[72:73]        // 0000000054EC: D3B04018 1D205D18
	v_pk_fma_f32 v[26:27], v[26:27], s[46:47], v[72:73]        // 0000000054F4: D3B0401A 1D205D1A
	v_exp_f32_e32 v24, v24                                     // 0000000054FC: 7E304118
	v_exp_f32_e32 v25, v25                                     // 000000005500: 7E324119
	v_exp_f32_e32 v26, v26                                     // 000000005504: 7E34411A
	v_exp_f32_e32 v27, v27                                     // 000000005508: 7E36411B
	v_pk_fma_f32 v[28:29], v[28:29], s[46:47], v[72:73]        // 00000000550C: D3B0401C 1D205D1C
	v_pk_fma_f32 v[30:31], v[30:31], s[46:47], v[72:73]        // 000000005514: D3B0401E 1D205D1E
	v_exp_f32_e32 v28, v28                                     // 00000000551C: 7E38411C
	v_exp_f32_e32 v29, v29                                     // 000000005520: 7E3A411D
	v_exp_f32_e32 v30, v30                                     // 000000005524: 7E3C411E
	v_exp_f32_e32 v31, v31                                     // 000000005528: 7E3E411F
	v_mul_f32_dpp v32, v68, v16 row_newbcast:0 row_mask:0xf bank_mask:0xf// 00000000552C: 0A4020FA FF015044
	v_mul_f32_dpp v33, v68, v17 row_newbcast:1 row_mask:0xf bank_mask:0xf// 000000005534: 0A4222FA FF015144
	v_mul_f32_dpp v34, v68, v18 row_newbcast:2 row_mask:0xf bank_mask:0xf// 00000000553C: 0A4424FA FF015244
	v_mul_f32_dpp v35, v68, v19 row_newbcast:3 row_mask:0xf bank_mask:0xf// 000000005544: 0A4626FA FF015344
	v_mul_f32_dpp v36, v68, v20 row_newbcast:4 row_mask:0xf bank_mask:0xf// 00000000554C: 0A4828FA FF015444
	v_mul_f32_dpp v37, v68, v21 row_newbcast:5 row_mask:0xf bank_mask:0xf// 000000005554: 0A4A2AFA FF015544
	v_mul_f32_dpp v38, v68, v22 row_newbcast:6 row_mask:0xf bank_mask:0xf// 00000000555C: 0A4C2CFA FF015644
	v_mul_f32_dpp v39, v68, v23 row_newbcast:7 row_mask:0xf bank_mask:0xf// 000000005564: 0A4E2EFA FF015744
	v_mul_f32_dpp v40, v68, v24 row_newbcast:8 row_mask:0xf bank_mask:0xf// 00000000556C: 0A5030FA FF015844
	v_mul_f32_dpp v41, v68, v25 row_newbcast:9 row_mask:0xf bank_mask:0xf// 000000005574: 0A5232FA FF015944
	v_mul_f32_dpp v42, v68, v26 row_newbcast:10 row_mask:0xf bank_mask:0xf// 00000000557C: 0A5434FA FF015A44
	v_mul_f32_dpp v43, v68, v27 row_newbcast:11 row_mask:0xf bank_mask:0xf// 000000005584: 0A5636FA FF015B44
	v_mul_f32_dpp v44, v68, v28 row_newbcast:12 row_mask:0xf bank_mask:0xf// 00000000558C: 0A5838FA FF015C44
	v_mul_f32_dpp v45, v68, v29 row_newbcast:13 row_mask:0xf bank_mask:0xf// 000000005594: 0A5A3AFA FF015D44
	v_mul_f32_dpp v46, v68, v30 row_newbcast:14 row_mask:0xf bank_mask:0xf// 00000000559C: 0A5C3CFA FF015E44
	v_mul_f32_dpp v47, v68, v31 row_newbcast:15 row_mask:0xf bank_mask:0xf// 0000000055A4: 0A5E3EFA FF015F44
	v_mov_b32_e32 v92, 0x358637bd                              // 0000000055AC: 7EB802FF 358637BD
	v_max3_f32 v92, |v32|, |v33|, v92                          // 0000000055B4: D1D3035C 05724320
	v_max3_f32 v92, |v34|, |v35|, v92                          // 0000000055BC: D1D3035C 05724722
	v_max3_f32 v92, |v36|, |v37|, v92                          // 0000000055C4: D1D3035C 05724B24
	v_max3_f32 v92, |v38|, |v39|, v92                          // 0000000055CC: D1D3035C 05724F26
	v_max3_f32 v92, |v40|, |v41|, v92                          // 0000000055D4: D1D3035C 05725328
	v_max3_f32 v92, |v42|, |v43|, v92                          // 0000000055DC: D1D3035C 0572572A
	v_max3_f32 v92, |v44|, |v45|, v92                          // 0000000055E4: D1D3035C 05725B2C
	v_max3_f32 v92, |v46|, |v47|, v92                          // 0000000055EC: D1D3035C 05725F2E
	ds_write_b32 v128, v92 offset:1280                         // 0000000055F4: D81A0500 00005C80
	buffer_load_dword v67, v116, s[20:23], 0 offen             // 0000000055FC: E0501000 80054374
	v_sub_f32_e32 v94, v96, v97                                // 000000005604: 04BCC360
	v_cmp_eq_u32_e64 s[98:99], v107, v96                       // 000000005608: D0CA0062 0002C16B
	s_nop 0                                                    // 000000005610: BF800000
	v_cndmask_b32_e64 v94, v94, 0, s[98:99]                    // 000000005614: D100005E 0189015E
	v_mov_b32_e32 v96, v97                                     // 00000000561C: 7EC00361
	v_mul_f32_e32 v94, s46, v94                                // 000000005620: 0ABCBC2E
	v_exp_f32_e32 v94, v94                                     // 000000005624: 7EBC415E
	s_nop 0                                                    // 000000005628: BF800000
	v_mov_b32_e32 v95, v94                                     // 00000000562C: 7EBE035E
	buffer_load_dword v69, v117, s[24:27], 0 offen             // 000000005630: E0501000 80064575
	s_waitcnt lgkmcnt(0)                                       // 000000005638: BF8CC07F
	s_barrier                                                  // 00000000563C: BF8A0000
	v_mul_f32_e32 v98, v94, v98                                // 000000005640: 0AC4C55E
	v_add_f32_e32 v98, v16, v98                                // 000000005644: 02C4C510
	v_add_f32_e32 v98, v17, v98                                // 000000005648: 02C4C511
	v_add_f32_e32 v98, v18, v98                                // 00000000564C: 02C4C512
	v_add_f32_e32 v98, v19, v98                                // 000000005650: 02C4C513
	v_add_f32_e32 v98, v20, v98                                // 000000005654: 02C4C514
	v_add_f32_e32 v98, v21, v98                                // 000000005658: 02C4C515
	v_add_f32_e32 v98, v22, v98                                // 00000000565C: 02C4C516
	v_add_f32_e32 v98, v23, v98                                // 000000005660: 02C4C517
	v_add_f32_e32 v98, v24, v98                                // 000000005664: 02C4C518
	v_add_f32_e32 v98, v25, v98                                // 000000005668: 02C4C519
	v_add_f32_e32 v98, v26, v98                                // 00000000566C: 02C4C51A
	v_add_f32_e32 v98, v27, v98                                // 000000005670: 02C4C51B
	v_add_f32_e32 v98, v28, v98                                // 000000005674: 02C4C51C
	v_add_f32_e32 v98, v29, v98                                // 000000005678: 02C4C51D
	v_add_f32_e32 v98, v30, v98                                // 00000000567C: 02C4C51E
	v_add_f32_e32 v98, v31, v98                                // 000000005680: 02C4C51F
	buffer_load_dwordx4 a[100:103], v113, s[16:19], 0 offen    // 000000005684: E05C1000 80846471
	ds_read_b32 v76, v129 offset:1280                          // 00000000568C: D86C0500 4C000081
	ds_read_b32 v77, v129 offset:1344                          // 000000005694: D86C0540 4D000081
	ds_read_b32 v78, v129 offset:1408                          // 00000000569C: D86C0580 4E000081
	ds_read_b32 v79, v129 offset:1472                          // 0000000056A4: D86C05C0 4F000081
	ds_read_b32 v80, v129 offset:1536                          // 0000000056AC: D86C0600 50000081
	ds_read_b32 v81, v129 offset:1600                          // 0000000056B4: D86C0640 51000081
	ds_read_b32 v82, v129 offset:1664                          // 0000000056BC: D86C0680 52000081
	ds_read_b32 v83, v129 offset:1728                          // 0000000056C4: D86C06C0 53000081
	ds_read_b32 v84, v129 offset:1792                          // 0000000056CC: D86C0700 54000081
	ds_read_b32 v85, v129 offset:1856                          // 0000000056D4: D86C0740 55000081
	ds_read_b32 v86, v129 offset:1920                          // 0000000056DC: D86C0780 56000081
	ds_read_b32 v87, v129 offset:1984                          // 0000000056E4: D86C07C0 57000081
	ds_read_b32 v88, v129 offset:2048                          // 0000000056EC: D86C0800 58000081
	ds_read_b32 v89, v129 offset:2112                          // 0000000056F4: D86C0840 59000081
	ds_read_b32 v90, v129 offset:2176                          // 0000000056FC: D86C0880 5A000081
	ds_read_b32 v91, v129 offset:2240                          // 000000005704: D86C08C0 5B000081
	buffer_load_dwordx4 a[96:99], v112, s[16:19], 0 offen      // 00000000570C: E05C1000 80846070
	s_waitcnt lgkmcnt(0)                                       // 000000005714: BF8CC07F
	v_max3_f32 v92, v76, v77, v92                              // 000000005718: D1D3005C 05729B4C
	v_max3_f32 v92, v78, v79, v92                              // 000000005720: D1D3005C 05729F4E
	v_max3_f32 v92, v80, v81, v92                              // 000000005728: D1D3005C 0572A350
	v_max3_f32 v92, v82, v83, v92                              // 000000005730: D1D3005C 0572A752
	v_max3_f32 v92, v84, v85, v92                              // 000000005738: D1D3005C 0572AB54
	v_max3_f32 v92, v86, v87, v92                              // 000000005740: D1D3005C 0572AF56
	v_max3_f32 v92, v88, v89, v92                              // 000000005748: D1D3005C 0572B358
	v_max3_f32 v92, v90, v91, v92                              // 000000005750: D1D3005C 0572B75A
	v_rcp_f32_e32 v92, v92                                     // 000000005758: 7EB8455C
	s_nop 0                                                    // 00000000575C: BF800000
	v_mul_f32_e32 v92, 0x43700000, v92                         // 000000005760: 0AB8B8FF 43700000
	v_mov_b32_e32 v93, v92                                     // 000000005768: 7EBA035C
	v_pk_mul_f32 v[16:17], v[92:93], v[32:33]                  // 00000000576C: D3B14010 1802415C
	v_pk_mul_f32 v[18:19], v[92:93], v[34:35]                  // 000000005774: D3B14012 1802455C
	v_pk_mul_f32 v[20:21], v[92:93], v[36:37]                  // 00000000577C: D3B14014 1802495C
	v_pk_mul_f32 v[22:23], v[92:93], v[38:39]                  // 000000005784: D3B14016 18024D5C
	v_pk_mul_f32 v[24:25], v[92:93], v[40:41]                  // 00000000578C: D3B14018 1802515C
	v_pk_mul_f32 v[26:27], v[92:93], v[42:43]                  // 000000005794: D3B1401A 1802555C
	v_pk_mul_f32 v[28:29], v[92:93], v[44:45]                  // 00000000579C: D3B1401C 1802595C
	v_pk_mul_f32 v[30:31], v[92:93], v[46:47]                  // 0000000057A4: D3B1401E 18025D5C
	v_cvt_pk_fp8_f32 v16, v16, v17                             // 0000000057AC: D2A20010 00022310
	v_cvt_pk_fp8_f32 v16, v18, v19 op_sel:[0,0,1]              // 0000000057B4: D2A24010 00022712
	v_cvt_pk_fp8_f32 v17, v20, v21                             // 0000000057BC: D2A20011 00022B14
	v_cvt_pk_fp8_f32 v17, v22, v23 op_sel:[0,0,1]              // 0000000057C4: D2A24011 00022F16
	v_cvt_pk_fp8_f32 v18, v24, v25                             // 0000000057CC: D2A20012 00023318
	v_cvt_pk_fp8_f32 v18, v26, v27 op_sel:[0,0,1]              // 0000000057D4: D2A24012 0002371A
	v_cvt_pk_fp8_f32 v19, v28, v29                             // 0000000057DC: D2A20013 00023B1C
	v_cvt_pk_fp8_f32 v19, v30, v31 op_sel:[0,0,1]              // 0000000057E4: D2A24013 00023F1E
	ds_write_b32 v130, v16 offset:2560                         // 0000000057EC: D81A0A00 00001082
	ds_write_b32 v130, v17 offset:3584                         // 0000000057F4: D81A0E00 00001182
	ds_write_b32 v130, v18 offset:4608                         // 0000000057FC: D81A1200 00001282
	ds_write_b32 v130, v19 offset:5632                         // 000000005804: D81A1600 00001382
	v_rcp_f32_e32 v70, v92                                     // 00000000580C: 7E8C455C
	s_nop 0                                                    // 000000005810: BF800000
	v_mov_b32_e32 v71, v70                                     // 000000005814: 7E8E0346
	buffer_load_dwordx4 a[104:107], v114, s[16:19], 0 offen    // 000000005818: E05C1000 80846872
	v_pk_add_f32 v[56:57], v[56:57], v[48:49]                  // 000000005820: D3B24038 18026138
	v_pk_add_f32 v[58:59], v[58:59], v[50:51]                  // 000000005828: D3B2403A 1802653A
	v_pk_add_f32 v[60:61], v[60:61], v[52:53]                  // 000000005830: D3B2403C 1802693C
	v_pk_add_f32 v[62:63], v[62:63], v[54:55]                  // 000000005838: D3B2403E 18026D3E
	s_waitcnt lgkmcnt(0)                                       // 000000005840: BF8CC07F
	s_barrier                                                  // 000000005844: BF8A0000
	ds_read_b128 v[16:19], v131 offset:2560                    // 000000005848: D9FE0A00 10000083
	ds_read_b128 v[20:23], v131 offset:3584                    // 000000005850: D9FE0E00 14000083
	ds_read_b128 v[24:27], v131 offset:4608                    // 000000005858: D9FE1200 18000083
	ds_read_b128 v[28:31], v131 offset:5632                    // 000000005860: D9FE1600 1C000083
	buffer_load_dwordx4 a[108:111], v115, s[16:19], 0 offen    // 000000005868: E05C1000 80846C73
	s_waitcnt vmcnt(14)                                        // 000000005870: BF8C0F7E
	s_waitcnt lgkmcnt(3)                                       // 000000005874: BF8CC37F
	v_mfma_f32_16x16x32_fp8_fp8 v[48:51], a[64:65], v[16:17], 0// 000000005878: D3F30030 0A022140
	s_lshl_b32 s68, s76, 2                                     // 000000005880: 8E44824C
	v_mfma_f32_16x16x32_fp8_fp8 v[52:55], a[80:81], v[16:17], 0// 000000005884: D3F30034 0A022150
	s_cmp_lt_u32 s76, s77                                      // 00000000588C: BF0A4D4C
	s_cselect_b32 s68, s68, 0                                  // 000000005890: 85448044
	v_mfma_f32_16x16x32_fp8_fp8 v[48:51], a[66:67], v[18:19], v[48:51]// 000000005894: D3F30030 0CC22542
	buffer_load_dwordx4 a[112:115], v112, s[16:19], 0 offen offset:1024// 00000000589C: E05C1400 80847070
	v_mfma_f32_16x16x32_fp8_fp8 v[52:55], a[82:83], v[18:19], v[52:55]// 0000000058A4: D3F30034 0CD22552
	s_addk_i32 s76, 0x1                                        // 0000000058AC: B74C0001
	s_waitcnt lgkmcnt(2)                                       // 0000000058B0: BF8CC27F
	v_mfma_f32_16x16x32_fp8_fp8 v[48:51], a[68:69], v[20:21], v[48:51]// 0000000058B4: D3F30030 0CC22944
	v_mfma_f32_16x16x32_fp8_fp8 v[52:55], a[84:85], v[20:21], v[52:55]// 0000000058BC: D3F30034 0CD22954
	v_mfma_f32_16x16x32_fp8_fp8 v[48:51], a[70:71], v[22:23], v[48:51]// 0000000058C4: D3F30030 0CC22D46
	buffer_load_dwordx4 a[116:119], v113, s[16:19], 0 offen offset:1024// 0000000058CC: E05C1400 80847471
	v_mfma_f32_16x16x32_fp8_fp8 v[52:55], a[86:87], v[22:23], v[52:55]// 0000000058D4: D3F30034 0CD22D56
	s_waitcnt lgkmcnt(1)                                       // 0000000058DC: BF8CC17F
	v_mfma_f32_16x16x32_fp8_fp8 v[48:51], a[72:73], v[24:25], v[48:51]// 0000000058E0: D3F30030 0CC23148
	v_mfma_f32_16x16x32_fp8_fp8 v[52:55], a[88:89], v[24:25], v[52:55]// 0000000058E8: D3F30034 0CD23158
	v_mfma_f32_16x16x32_fp8_fp8 v[48:51], a[74:75], v[26:27], v[48:51]// 0000000058F0: D3F30030 0CC2354A
	buffer_load_dwordx4 a[120:123], v114, s[16:19], 0 offen offset:1024// 0000000058F8: E05C1400 80847872
	v_mfma_f32_16x16x32_fp8_fp8 v[52:55], a[90:91], v[26:27], v[52:55]// 000000005900: D3F30034 0CD2355A
	s_waitcnt lgkmcnt(0)                                       // 000000005908: BF8CC07F
	v_mfma_f32_16x16x32_fp8_fp8 v[48:51], a[76:77], v[28:29], v[48:51]// 00000000590C: D3F30030 0CC2394C
	v_mfma_f32_16x16x32_fp8_fp8 v[52:55], a[92:93], v[28:29], v[52:55]// 000000005914: D3F30034 0CD2395C
	v_mfma_f32_16x16x32_fp8_fp8 v[48:51], a[78:79], v[30:31], v[48:51]// 00000000591C: D3F30030 0CC23D4E
	buffer_load_dwordx4 a[124:127], v115, s[16:19], 0 offen offset:1024// 000000005924: E05C1400 80847C73
	v_mfma_f32_16x16x32_fp8_fp8 v[52:55], a[94:95], v[30:31], v[52:55]// 00000000592C: D3F30034 0CD23D5E
	s_load_dword s59, s[42:43], s68                            // 000000005934: C0000ED5 00000044
	s_addk_i32 s64, 0x100                                      // 00000000593C: B7400100
	s_cmp_lt_i32 s64, s63                                      // 000000005940: BF043F40
	s_cbranch_scc0 label_160D                                  // 000000005944: BF8409BB
	s_waitcnt vmcnt(10)                                        // 000000005948: BF8C0F7A
	v_mfma_f32_16x16x32_fp8_fp8 v[16:19], a[32:33], v[8:9], 0  // 00000000594C: D3F30010 0A021120
	s_add_u32 s12, s86, s69                                    // 000000005954: 800C4556
	s_addc_u32 s13, s87, 0                                     // 000000005958: 820D8057
	v_mfma_f32_16x16x32_fp8_fp8 v[16:19], a[34:35], v[10:11], v[16:19]// 00000000595C: D3F30010 0C421522
	s_add_u32 s16, s88, s70                                    // 000000005964: 80104658
	s_addc_u32 s17, s89, 0                                     // 000000005968: 82118059
	v_mfma_f32_16x16x32_fp8_fp8 v[16:19], a[36:37], v[12:13], v[16:19]// 00000000596C: D3F30010 0C421924
	buffer_load_dwordx4 a[0:3], v110, s[12:15], 0 offen        // 000000005974: E05C1000 8083006E
	v_mfma_f32_16x16x32_fp8_fp8 v[16:19], a[38:39], v[14:15], v[16:19]// 00000000597C: D3F30010 0C421D26
	s_add_u32 s20, s90, s71                                    // 000000005984: 8014475A
	s_addc_u32 s21, s91, 0                                     // 000000005988: 8215805B
	v_mfma_f32_16x16x32_fp8_fp8 v[20:23], a[40:41], v[8:9], 0  // 00000000598C: D3F30014 0A021128
	s_add_u32 s24, s92, s71                                    // 000000005994: 8018475C
	s_addc_u32 s25, s93, 0                                     // 000000005998: 8219805D
	v_mfma_f32_16x16x32_fp8_fp8 v[20:23], a[42:43], v[10:11], v[20:23]// 00000000599C: D3F30014 0C52152A
	s_add_u32 s69, s69, 0x1000                                 // 0000000059A4: 8045FF45 00001000
	s_add_u32 s70, s70, 0x8000                                 // 0000000059AC: 8046FF46 00008000
	v_mfma_f32_16x16x32_fp8_fp8 v[20:23], a[44:45], v[12:13], v[20:23]// 0000000059B4: D3F30014 0C52192C
	buffer_load_dwordx4 a[4:7], v111, s[12:15], 0 offen        // 0000000059BC: E05C1000 8083046F
	v_mfma_f32_16x16x32_fp8_fp8 v[20:23], a[46:47], v[14:15], v[20:23]// 0000000059C4: D3F30014 0C521D2E
	s_add_u32 s71, s71, 0x400                                  // 0000000059CC: 8047FF47 00000400
	v_mfma_f32_16x16x32_fp8_fp8 v[24:27], a[48:49], v[8:9], 0  // 0000000059D4: D3F30018 0A021130
	v_mfma_f32_16x16x32_fp8_fp8 v[24:27], a[50:51], v[10:11], v[24:27]// 0000000059DC: D3F30018 0C621532
	v_mfma_f32_16x16x32_fp8_fp8 v[24:27], a[52:53], v[12:13], v[24:27]// 0000000059E4: D3F30018 0C621934
	buffer_load_dwordx4 a[8:11], v110, s[12:15], 0 offen offset:1024// 0000000059EC: E05C1400 8083086E
	v_mfma_f32_16x16x32_fp8_fp8 v[24:27], a[54:55], v[14:15], v[24:27]// 0000000059F4: D3F30018 0C621D36
	v_mfma_f32_16x16x32_fp8_fp8 v[28:31], a[56:57], v[8:9], 0  // 0000000059FC: D3F3001C 0A021138
	v_mfma_f32_16x16x32_fp8_fp8 v[28:31], a[58:59], v[10:11], v[28:31]// 000000005A04: D3F3001C 0C72153A
	v_mfma_f32_16x16x32_fp8_fp8 v[28:31], a[60:61], v[12:13], v[28:31]// 000000005A0C: D3F3001C 0C72193C
	buffer_load_dwordx4 a[12:15], v111, s[12:15], 0 offen offset:1024// 000000005A14: E05C1400 80830C6F
	v_mfma_f32_16x16x32_fp8_fp8 v[28:31], a[62:63], v[14:15], v[28:31]// 000000005A1C: D3F3001C 0C721D3E
	s_waitcnt vmcnt(12)                                        // 000000005A24: BF8C0F7C
	v_pk_mul_f32 v[16:17], v[64:65], v[16:17]                  // 000000005A28: D3B14010 18022140
	v_pk_mul_f32 v[18:19], v[64:65], v[18:19]                  // 000000005A30: D3B14012 18022540
	v_mul_f32_dpp v16, v67, v16 row_newbcast:0 row_mask:0xf bank_mask:0xf// 000000005A38: 0A2020FA FF015043
	v_mul_f32_dpp v17, v67, v17 row_newbcast:1 row_mask:0xf bank_mask:0xf// 000000005A40: 0A2222FA FF015143
	v_mul_f32_dpp v18, v67, v18 row_newbcast:2 row_mask:0xf bank_mask:0xf// 000000005A48: 0A2424FA FF015243
	v_mul_f32_dpp v19, v67, v19 row_newbcast:3 row_mask:0xf bank_mask:0xf// 000000005A50: 0A2626FA FF015343
	v_pk_mul_f32 v[20:21], v[64:65], v[20:21]                  // 000000005A58: D3B14014 18022940
	v_pk_mul_f32 v[22:23], v[64:65], v[22:23]                  // 000000005A60: D3B14016 18022D40
	v_mul_f32_dpp v20, v67, v20 row_newbcast:4 row_mask:0xf bank_mask:0xf// 000000005A68: 0A2828FA FF015443
	v_mul_f32_dpp v21, v67, v21 row_newbcast:5 row_mask:0xf bank_mask:0xf// 000000005A70: 0A2A2AFA FF015543
	v_mul_f32_dpp v22, v67, v22 row_newbcast:6 row_mask:0xf bank_mask:0xf// 000000005A78: 0A2C2CFA FF015643
	v_mul_f32_dpp v23, v67, v23 row_newbcast:7 row_mask:0xf bank_mask:0xf// 000000005A80: 0A2E2EFA FF015743
	v_pk_mul_f32 v[24:25], v[64:65], v[24:25]                  // 000000005A88: D3B14018 18023140
	v_pk_mul_f32 v[26:27], v[64:65], v[26:27]                  // 000000005A90: D3B1401A 18023540
	v_mul_f32_dpp v24, v67, v24 row_newbcast:8 row_mask:0xf bank_mask:0xf// 000000005A98: 0A3030FA FF015843
	v_mul_f32_dpp v25, v67, v25 row_newbcast:9 row_mask:0xf bank_mask:0xf// 000000005AA0: 0A3232FA FF015943
	v_mul_f32_dpp v26, v67, v26 row_newbcast:10 row_mask:0xf bank_mask:0xf// 000000005AA8: 0A3434FA FF015A43
	v_mul_f32_dpp v27, v67, v27 row_newbcast:11 row_mask:0xf bank_mask:0xf// 000000005AB0: 0A3636FA FF015B43
	v_pk_mul_f32 v[28:29], v[64:65], v[28:29]                  // 000000005AB8: D3B1401C 18023940
	v_pk_mul_f32 v[30:31], v[64:65], v[30:31]                  // 000000005AC0: D3B1401E 18023D40
	v_mul_f32_dpp v28, v67, v28 row_newbcast:12 row_mask:0xf bank_mask:0xf// 000000005AC8: 0A3838FA FF015C43
	v_mul_f32_dpp v29, v67, v29 row_newbcast:13 row_mask:0xf bank_mask:0xf// 000000005AD0: 0A3A3AFA FF015D43
	v_mul_f32_dpp v30, v67, v30 row_newbcast:14 row_mask:0xf bank_mask:0xf// 000000005AD8: 0A3C3CFA FF015E43
	v_mul_f32_dpp v31, v67, v31 row_newbcast:15 row_mask:0xf bank_mask:0xf// 000000005AE0: 0A3E3EFA FF015F43
	buffer_load_dwordx4 a[16:19], v110, s[12:15], 0 offen offset:2048// 000000005AE8: E05C1800 8083106E
	v_mov_b32_e32 v92, v16                                     // 000000005AF0: 7EB80310
	v_max3_f32 v92, v16, v17, v92                              // 000000005AF4: D1D3005C 05722310
	v_max3_f32 v92, v18, v19, v92                              // 000000005AFC: D1D3005C 05722712
	v_max3_f32 v92, v20, v21, v92                              // 000000005B04: D1D3005C 05722B14
	v_max3_f32 v92, v22, v23, v92                              // 000000005B0C: D1D3005C 05722F16
	v_max3_f32 v92, v24, v25, v92                              // 000000005B14: D1D3005C 05723318
	v_max3_f32 v92, v26, v27, v92                              // 000000005B1C: D1D3005C 0572371A
	v_max3_f32 v92, v28, v29, v92                              // 000000005B24: D1D3005C 05723B1C
	v_max3_f32 v92, v30, v31, v92                              // 000000005B2C: D1D3005C 05723F1E
	ds_write_b32 v128, v92                                     // 000000005B34: D81A0000 00005C80
	v_pk_mul_f32 v[56:57], v[94:95], v[56:57]                  // 000000005B3C: D3B14038 1802715E
	v_pk_mul_f32 v[58:59], v[94:95], v[58:59]                  // 000000005B44: D3B1403A 1802755E
	v_pk_mul_f32 v[60:61], v[94:95], v[60:61]                  // 000000005B4C: D3B1403C 1802795E
	v_pk_mul_f32 v[62:63], v[94:95], v[62:63]                  // 000000005B54: D3B1403E 18027D5E
	buffer_load_dwordx4 a[20:23], v111, s[12:15], 0 offen offset:2048// 000000005B5C: E05C1800 8083146F
	s_waitcnt lgkmcnt(0)                                       // 000000005B64: BF8CC07F
	s_barrier                                                  // 000000005B68: BF8A0000
	v_pk_mul_f32 v[48:49], v[70:71], v[48:49]                  // 000000005B6C: D3B14030 18026146
	v_pk_mul_f32 v[50:51], v[70:71], v[50:51]                  // 000000005B74: D3B14032 18026546
	v_pk_mul_f32 v[52:53], v[70:71], v[52:53]                  // 000000005B7C: D3B14034 18026946
	v_pk_mul_f32 v[54:55], v[70:71], v[54:55]                  // 000000005B84: D3B14036 18026D46
	buffer_load_dwordx4 a[24:27], v110, s[12:15], 0 offen offset:3072// 000000005B8C: E05C1C00 8083186E
	ds_read_b32 v76, v129                                      // 000000005B94: D86C0000 4C000081
	ds_read_b32 v77, v129 offset:64                            // 000000005B9C: D86C0040 4D000081
	ds_read_b32 v78, v129 offset:128                           // 000000005BA4: D86C0080 4E000081
	ds_read_b32 v79, v129 offset:192                           // 000000005BAC: D86C00C0 4F000081
	ds_read_b32 v80, v129 offset:256                           // 000000005BB4: D86C0100 50000081
	ds_read_b32 v81, v129 offset:320                           // 000000005BBC: D86C0140 51000081
	ds_read_b32 v82, v129 offset:384                           // 000000005BC4: D86C0180 52000081
	ds_read_b32 v83, v129 offset:448                           // 000000005BCC: D86C01C0 53000081
	ds_read_b32 v84, v129 offset:512                           // 000000005BD4: D86C0200 54000081
	ds_read_b32 v85, v129 offset:576                           // 000000005BDC: D86C0240 55000081
	ds_read_b32 v86, v129 offset:640                           // 000000005BE4: D86C0280 56000081
	ds_read_b32 v87, v129 offset:704                           // 000000005BEC: D86C02C0 57000081
	ds_read_b32 v88, v129 offset:768                           // 000000005BF4: D86C0300 58000081
	ds_read_b32 v89, v129 offset:832                           // 000000005BFC: D86C0340 59000081
	ds_read_b32 v90, v129 offset:896                           // 000000005C04: D86C0380 5A000081
	ds_read_b32 v91, v129 offset:960                           // 000000005C0C: D86C03C0 5B000081
	buffer_load_dwordx4 a[28:31], v111, s[12:15], 0 offen offset:3072// 000000005C14: E05C1C00 80831C6F
	s_waitcnt lgkmcnt(0)                                       // 000000005C1C: BF8CC07F
	v_max3_f32 v92, v76, v77, v92                              // 000000005C20: D1D3005C 05729B4C
	v_max3_f32 v92, v78, v79, v92                              // 000000005C28: D1D3005C 05729F4E
	v_max3_f32 v92, v80, v81, v92                              // 000000005C30: D1D3005C 0572A350
	v_max3_f32 v92, v82, v83, v92                              // 000000005C38: D1D3005C 0572A752
	v_max3_f32 v92, v84, v85, v92                              // 000000005C40: D1D3005C 0572AB54
	v_max3_f32 v92, v86, v87, v92                              // 000000005C48: D1D3005C 0572AF56
	v_max3_f32 v92, v88, v89, v92                              // 000000005C50: D1D3005C 0572B358
	v_max3_f32 v92, v90, v91, v92                              // 000000005C58: D1D3005C 0572B75A
	v_max_f32_e32 v97, v92, v96                                // 000000005C60: 16C2C15C
	v_mul_f32_e64 v72, -s46, v97                               // 000000005C64: D1050048 2002C22E
	v_mov_b32_e32 v73, v72                                     // 000000005C6C: 7E920348
	v_pk_fma_f32 v[16:17], v[16:17], s[46:47], v[72:73]        // 000000005C70: D3B04010 1D205D10
	v_pk_fma_f32 v[18:19], v[18:19], s[46:47], v[72:73]        // 000000005C78: D3B04012 1D205D12
	v_exp_f32_e32 v16, v16                                     // 000000005C80: 7E204110
	v_exp_f32_e32 v17, v17                                     // 000000005C84: 7E224111
	v_exp_f32_e32 v18, v18                                     // 000000005C88: 7E244112
	v_exp_f32_e32 v19, v19                                     // 000000005C8C: 7E264113
	v_pk_fma_f32 v[20:21], v[20:21], s[46:47], v[72:73]        // 000000005C90: D3B04014 1D205D14
	v_pk_fma_f32 v[22:23], v[22:23], s[46:47], v[72:73]        // 000000005C98: D3B04016 1D205D16
	v_exp_f32_e32 v20, v20                                     // 000000005CA0: 7E284114
	v_exp_f32_e32 v21, v21                                     // 000000005CA4: 7E2A4115
	v_exp_f32_e32 v22, v22                                     // 000000005CA8: 7E2C4116
	v_exp_f32_e32 v23, v23                                     // 000000005CAC: 7E2E4117
	v_pk_fma_f32 v[24:25], v[24:25], s[46:47], v[72:73]        // 000000005CB0: D3B04018 1D205D18
	v_pk_fma_f32 v[26:27], v[26:27], s[46:47], v[72:73]        // 000000005CB8: D3B0401A 1D205D1A
	v_exp_f32_e32 v24, v24                                     // 000000005CC0: 7E304118
	v_exp_f32_e32 v25, v25                                     // 000000005CC4: 7E324119
	v_exp_f32_e32 v26, v26                                     // 000000005CC8: 7E34411A
	v_exp_f32_e32 v27, v27                                     // 000000005CCC: 7E36411B
	v_pk_fma_f32 v[28:29], v[28:29], s[46:47], v[72:73]        // 000000005CD0: D3B0401C 1D205D1C
	v_pk_fma_f32 v[30:31], v[30:31], s[46:47], v[72:73]        // 000000005CD8: D3B0401E 1D205D1E
	v_exp_f32_e32 v28, v28                                     // 000000005CE0: 7E38411C
	v_exp_f32_e32 v29, v29                                     // 000000005CE4: 7E3A411D
	v_exp_f32_e32 v30, v30                                     // 000000005CE8: 7E3C411E
	v_exp_f32_e32 v31, v31                                     // 000000005CEC: 7E3E411F
	v_mul_f32_dpp v32, v69, v16 row_newbcast:0 row_mask:0xf bank_mask:0xf// 000000005CF0: 0A4020FA FF015045
	v_mul_f32_dpp v33, v69, v17 row_newbcast:1 row_mask:0xf bank_mask:0xf// 000000005CF8: 0A4222FA FF015145
	v_mul_f32_dpp v34, v69, v18 row_newbcast:2 row_mask:0xf bank_mask:0xf// 000000005D00: 0A4424FA FF015245
	v_mul_f32_dpp v35, v69, v19 row_newbcast:3 row_mask:0xf bank_mask:0xf// 000000005D08: 0A4626FA FF015345
	v_mul_f32_dpp v36, v69, v20 row_newbcast:4 row_mask:0xf bank_mask:0xf// 000000005D10: 0A4828FA FF015445
	v_mul_f32_dpp v37, v69, v21 row_newbcast:5 row_mask:0xf bank_mask:0xf// 000000005D18: 0A4A2AFA FF015545
	v_mul_f32_dpp v38, v69, v22 row_newbcast:6 row_mask:0xf bank_mask:0xf// 000000005D20: 0A4C2CFA FF015645
	v_mul_f32_dpp v39, v69, v23 row_newbcast:7 row_mask:0xf bank_mask:0xf// 000000005D28: 0A4E2EFA FF015745
	v_mul_f32_dpp v40, v69, v24 row_newbcast:8 row_mask:0xf bank_mask:0xf// 000000005D30: 0A5030FA FF015845
	v_mul_f32_dpp v41, v69, v25 row_newbcast:9 row_mask:0xf bank_mask:0xf// 000000005D38: 0A5232FA FF015945
	v_mul_f32_dpp v42, v69, v26 row_newbcast:10 row_mask:0xf bank_mask:0xf// 000000005D40: 0A5434FA FF015A45
	v_mul_f32_dpp v43, v69, v27 row_newbcast:11 row_mask:0xf bank_mask:0xf// 000000005D48: 0A5636FA FF015B45
	v_mul_f32_dpp v44, v69, v28 row_newbcast:12 row_mask:0xf bank_mask:0xf// 000000005D50: 0A5838FA FF015C45
	v_mul_f32_dpp v45, v69, v29 row_newbcast:13 row_mask:0xf bank_mask:0xf// 000000005D58: 0A5A3AFA FF015D45
	v_mul_f32_dpp v46, v69, v30 row_newbcast:14 row_mask:0xf bank_mask:0xf// 000000005D60: 0A5C3CFA FF015E45
	v_mul_f32_dpp v47, v69, v31 row_newbcast:15 row_mask:0xf bank_mask:0xf// 000000005D68: 0A5E3EFA FF015F45
	v_mov_b32_e32 v92, 0x358637bd                              // 000000005D70: 7EB802FF 358637BD
	v_max3_f32 v92, |v32|, |v33|, v92                          // 000000005D78: D1D3035C 05724320
	v_max3_f32 v92, |v34|, |v35|, v92                          // 000000005D80: D1D3035C 05724722
	v_max3_f32 v92, |v36|, |v37|, v92                          // 000000005D88: D1D3035C 05724B24
	v_max3_f32 v92, |v38|, |v39|, v92                          // 000000005D90: D1D3035C 05724F26
	v_max3_f32 v92, |v40|, |v41|, v92                          // 000000005D98: D1D3035C 05725328
	v_max3_f32 v92, |v42|, |v43|, v92                          // 000000005DA0: D1D3035C 0572572A
	v_max3_f32 v92, |v44|, |v45|, v92                          // 000000005DA8: D1D3035C 05725B2C
	v_max3_f32 v92, |v46|, |v47|, v92                          // 000000005DB0: D1D3035C 05725F2E
	ds_write_b32 v128, v92 offset:1280                         // 000000005DB8: D81A0500 00005C80
	buffer_load_dword v66, v116, s[20:23], 0 offen             // 000000005DC0: E0501000 80054274
	v_sub_f32_e32 v94, v96, v97                                // 000000005DC8: 04BCC360
	v_cmp_eq_u32_e64 s[98:99], v107, v96                       // 000000005DCC: D0CA0062 0002C16B
	s_nop 0                                                    // 000000005DD4: BF800000
	v_cndmask_b32_e64 v94, v94, 0, s[98:99]                    // 000000005DD8: D100005E 0189015E
	v_mov_b32_e32 v96, v97                                     // 000000005DE0: 7EC00361
	v_mul_f32_e32 v94, s46, v94                                // 000000005DE4: 0ABCBC2E
	v_exp_f32_e32 v94, v94                                     // 000000005DE8: 7EBC415E
	s_nop 0                                                    // 000000005DEC: BF800000
	v_mov_b32_e32 v95, v94                                     // 000000005DF0: 7EBE035E
	buffer_load_dword v68, v117, s[24:27], 0 offen             // 000000005DF4: E0501000 80064475
	s_waitcnt lgkmcnt(0)                                       // 000000005DFC: BF8CC07F
	s_barrier                                                  // 000000005E00: BF8A0000
	v_mul_f32_e32 v98, v94, v98                                // 000000005E04: 0AC4C55E
	v_add_f32_e32 v98, v16, v98                                // 000000005E08: 02C4C510
	v_add_f32_e32 v98, v17, v98                                // 000000005E0C: 02C4C511
	v_add_f32_e32 v98, v18, v98                                // 000000005E10: 02C4C512
	v_add_f32_e32 v98, v19, v98                                // 000000005E14: 02C4C513
	v_add_f32_e32 v98, v20, v98                                // 000000005E18: 02C4C514
	v_add_f32_e32 v98, v21, v98                                // 000000005E1C: 02C4C515
	v_add_f32_e32 v98, v22, v98                                // 000000005E20: 02C4C516
	v_add_f32_e32 v98, v23, v98                                // 000000005E24: 02C4C517
	v_add_f32_e32 v98, v24, v98                                // 000000005E28: 02C4C518
	v_add_f32_e32 v98, v25, v98                                // 000000005E2C: 02C4C519
	v_add_f32_e32 v98, v26, v98                                // 000000005E30: 02C4C51A
	v_add_f32_e32 v98, v27, v98                                // 000000005E34: 02C4C51B
	v_add_f32_e32 v98, v28, v98                                // 000000005E38: 02C4C51C
	v_add_f32_e32 v98, v29, v98                                // 000000005E3C: 02C4C51D
	v_add_f32_e32 v98, v30, v98                                // 000000005E40: 02C4C51E
	v_add_f32_e32 v98, v31, v98                                // 000000005E44: 02C4C51F
	buffer_load_dwordx4 a[68:71], v113, s[16:19], 0 offen      // 000000005E48: E05C1000 80844471
	ds_read_b32 v76, v129 offset:1280                          // 000000005E50: D86C0500 4C000081
	ds_read_b32 v77, v129 offset:1344                          // 000000005E58: D86C0540 4D000081
	ds_read_b32 v78, v129 offset:1408                          // 000000005E60: D86C0580 4E000081
	ds_read_b32 v79, v129 offset:1472                          // 000000005E68: D86C05C0 4F000081
	ds_read_b32 v80, v129 offset:1536                          // 000000005E70: D86C0600 50000081
	ds_read_b32 v81, v129 offset:1600                          // 000000005E78: D86C0640 51000081
	ds_read_b32 v82, v129 offset:1664                          // 000000005E80: D86C0680 52000081
	ds_read_b32 v83, v129 offset:1728                          // 000000005E88: D86C06C0 53000081
	ds_read_b32 v84, v129 offset:1792                          // 000000005E90: D86C0700 54000081
	ds_read_b32 v85, v129 offset:1856                          // 000000005E98: D86C0740 55000081
	ds_read_b32 v86, v129 offset:1920                          // 000000005EA0: D86C0780 56000081
	ds_read_b32 v87, v129 offset:1984                          // 000000005EA8: D86C07C0 57000081
	ds_read_b32 v88, v129 offset:2048                          // 000000005EB0: D86C0800 58000081
	ds_read_b32 v89, v129 offset:2112                          // 000000005EB8: D86C0840 59000081
	ds_read_b32 v90, v129 offset:2176                          // 000000005EC0: D86C0880 5A000081
	ds_read_b32 v91, v129 offset:2240                          // 000000005EC8: D86C08C0 5B000081
	buffer_load_dwordx4 a[64:67], v112, s[16:19], 0 offen      // 000000005ED0: E05C1000 80844070
	s_waitcnt lgkmcnt(0)                                       // 000000005ED8: BF8CC07F
	v_max3_f32 v92, v76, v77, v92                              // 000000005EDC: D1D3005C 05729B4C
	v_max3_f32 v92, v78, v79, v92                              // 000000005EE4: D1D3005C 05729F4E
	v_max3_f32 v92, v80, v81, v92                              // 000000005EEC: D1D3005C 0572A350
	v_max3_f32 v92, v82, v83, v92                              // 000000005EF4: D1D3005C 0572A752
	v_max3_f32 v92, v84, v85, v92                              // 000000005EFC: D1D3005C 0572AB54
	v_max3_f32 v92, v86, v87, v92                              // 000000005F04: D1D3005C 0572AF56
	v_max3_f32 v92, v88, v89, v92                              // 000000005F0C: D1D3005C 0572B358
	v_max3_f32 v92, v90, v91, v92                              // 000000005F14: D1D3005C 0572B75A
	v_rcp_f32_e32 v92, v92                                     // 000000005F1C: 7EB8455C
	s_nop 0                                                    // 000000005F20: BF800000
	v_mul_f32_e32 v92, 0x43700000, v92                         // 000000005F24: 0AB8B8FF 43700000
	v_mov_b32_e32 v93, v92                                     // 000000005F2C: 7EBA035C
	v_pk_mul_f32 v[16:17], v[92:93], v[32:33]                  // 000000005F30: D3B14010 1802415C
	v_pk_mul_f32 v[18:19], v[92:93], v[34:35]                  // 000000005F38: D3B14012 1802455C
	v_pk_mul_f32 v[20:21], v[92:93], v[36:37]                  // 000000005F40: D3B14014 1802495C
	v_pk_mul_f32 v[22:23], v[92:93], v[38:39]                  // 000000005F48: D3B14016 18024D5C
	v_pk_mul_f32 v[24:25], v[92:93], v[40:41]                  // 000000005F50: D3B14018 1802515C
	v_pk_mul_f32 v[26:27], v[92:93], v[42:43]                  // 000000005F58: D3B1401A 1802555C
	v_pk_mul_f32 v[28:29], v[92:93], v[44:45]                  // 000000005F60: D3B1401C 1802595C
	v_pk_mul_f32 v[30:31], v[92:93], v[46:47]                  // 000000005F68: D3B1401E 18025D5C
	v_cvt_pk_fp8_f32 v16, v16, v17                             // 000000005F70: D2A20010 00022310
	v_cvt_pk_fp8_f32 v16, v18, v19 op_sel:[0,0,1]              // 000000005F78: D2A24010 00022712
	v_cvt_pk_fp8_f32 v17, v20, v21                             // 000000005F80: D2A20011 00022B14
	v_cvt_pk_fp8_f32 v17, v22, v23 op_sel:[0,0,1]              // 000000005F88: D2A24011 00022F16
	v_cvt_pk_fp8_f32 v18, v24, v25                             // 000000005F90: D2A20012 00023318
	v_cvt_pk_fp8_f32 v18, v26, v27 op_sel:[0,0,1]              // 000000005F98: D2A24012 0002371A
	v_cvt_pk_fp8_f32 v19, v28, v29                             // 000000005FA0: D2A20013 00023B1C
	v_cvt_pk_fp8_f32 v19, v30, v31 op_sel:[0,0,1]              // 000000005FA8: D2A24013 00023F1E
	ds_write_b32 v130, v16 offset:2560                         // 000000005FB0: D81A0A00 00001082
	ds_write_b32 v130, v17 offset:3584                         // 000000005FB8: D81A0E00 00001182
	ds_write_b32 v130, v18 offset:4608                         // 000000005FC0: D81A1200 00001282
	ds_write_b32 v130, v19 offset:5632                         // 000000005FC8: D81A1600 00001382
	v_rcp_f32_e32 v70, v92                                     // 000000005FD0: 7E8C455C
	s_nop 0                                                    // 000000005FD4: BF800000
	v_mov_b32_e32 v71, v70                                     // 000000005FD8: 7E8E0346
	buffer_load_dwordx4 a[72:75], v114, s[16:19], 0 offen      // 000000005FDC: E05C1000 80844872
	v_pk_add_f32 v[56:57], v[56:57], v[48:49]                  // 000000005FE4: D3B24038 18026138
	v_pk_add_f32 v[58:59], v[58:59], v[50:51]                  // 000000005FEC: D3B2403A 1802653A
	v_pk_add_f32 v[60:61], v[60:61], v[52:53]                  // 000000005FF4: D3B2403C 1802693C
	v_pk_add_f32 v[62:63], v[62:63], v[54:55]                  // 000000005FFC: D3B2403E 18026D3E
	s_waitcnt lgkmcnt(0)                                       // 000000006004: BF8CC07F
	s_barrier                                                  // 000000006008: BF8A0000
	ds_read_b128 v[16:19], v131 offset:2560                    // 00000000600C: D9FE0A00 10000083
	ds_read_b128 v[20:23], v131 offset:3584                    // 000000006014: D9FE0E00 14000083
	ds_read_b128 v[24:27], v131 offset:4608                    // 00000000601C: D9FE1200 18000083
	ds_read_b128 v[28:31], v131 offset:5632                    // 000000006024: D9FE1600 1C000083
	buffer_load_dwordx4 a[76:79], v115, s[16:19], 0 offen      // 00000000602C: E05C1000 80844C73
	s_waitcnt vmcnt(14)                                        // 000000006034: BF8C0F7E
	s_waitcnt lgkmcnt(3)                                       // 000000006038: BF8CC37F
	v_mfma_f32_16x16x32_fp8_fp8 v[48:51], a[96:97], v[16:17], 0// 00000000603C: D3F30030 0A022160
	v_mfma_f32_16x16x32_fp8_fp8 v[52:55], a[112:113], v[16:17], 0// 000000006044: D3F30034 0A022170
	v_mfma_f32_16x16x32_fp8_fp8 v[48:51], a[98:99], v[18:19], v[48:51]// 00000000604C: D3F30030 0CC22562
	buffer_load_dwordx4 a[80:83], v112, s[16:19], 0 offen offset:1024// 000000006054: E05C1400 80845070
	v_mfma_f32_16x16x32_fp8_fp8 v[52:55], a[114:115], v[18:19], v[52:55]// 00000000605C: D3F30034 0CD22572
	s_waitcnt lgkmcnt(2)                                       // 000000006064: BF8CC27F
	v_mfma_f32_16x16x32_fp8_fp8 v[48:51], a[100:101], v[20:21], v[48:51]// 000000006068: D3F30030 0CC22964
	v_mfma_f32_16x16x32_fp8_fp8 v[52:55], a[116:117], v[20:21], v[52:55]// 000000006070: D3F30034 0CD22974
	v_mfma_f32_16x16x32_fp8_fp8 v[48:51], a[102:103], v[22:23], v[48:51]// 000000006078: D3F30030 0CC22D66
	buffer_load_dwordx4 a[84:87], v113, s[16:19], 0 offen offset:1024// 000000006080: E05C1400 80845471
	v_mfma_f32_16x16x32_fp8_fp8 v[52:55], a[118:119], v[22:23], v[52:55]// 000000006088: D3F30034 0CD22D76
	s_waitcnt lgkmcnt(1)                                       // 000000006090: BF8CC17F
	v_mfma_f32_16x16x32_fp8_fp8 v[48:51], a[104:105], v[24:25], v[48:51]// 000000006094: D3F30030 0CC23168
	v_mfma_f32_16x16x32_fp8_fp8 v[52:55], a[120:121], v[24:25], v[52:55]// 00000000609C: D3F30034 0CD23178
	v_mfma_f32_16x16x32_fp8_fp8 v[48:51], a[106:107], v[26:27], v[48:51]// 0000000060A4: D3F30030 0CC2356A
	buffer_load_dwordx4 a[88:91], v114, s[16:19], 0 offen offset:1024// 0000000060AC: E05C1400 80845872
	v_mfma_f32_16x16x32_fp8_fp8 v[52:55], a[122:123], v[26:27], v[52:55]// 0000000060B4: D3F30034 0CD2357A
	s_waitcnt lgkmcnt(0)                                       // 0000000060BC: BF8CC07F
	v_mfma_f32_16x16x32_fp8_fp8 v[48:51], a[108:109], v[28:29], v[48:51]// 0000000060C0: D3F30030 0CC2396C
	v_mfma_f32_16x16x32_fp8_fp8 v[52:55], a[124:125], v[28:29], v[52:55]// 0000000060C8: D3F30034 0CD2397C
	v_mfma_f32_16x16x32_fp8_fp8 v[48:51], a[110:111], v[30:31], v[48:51]// 0000000060D0: D3F30030 0CC23D6E
	buffer_load_dwordx4 a[92:95], v115, s[16:19], 0 offen offset:1024// 0000000060D8: E05C1400 80845C73
	v_mfma_f32_16x16x32_fp8_fp8 v[52:55], a[126:127], v[30:31], v[52:55]// 0000000060E0: D3F30034 0CD23D7E
	s_addk_i32 s64, 0x100                                      // 0000000060E8: B7400100
	s_cmp_lt_i32 s64, s63                                      // 0000000060EC: BF043F40
	s_cbranch_scc0 label_1A01                                  // 0000000060F0: BF840BC4
	s_waitcnt vmcnt(10)                                        // 0000000060F4: BF8C0F7A
	v_mfma_f32_16x16x32_fp8_fp8 v[16:19], a[0:1], v[8:9], 0    // 0000000060F8: D3F30010 0A021100
	s_add_u32 s12, s86, s69                                    // 000000006100: 800C4556
	s_addc_u32 s13, s87, 0                                     // 000000006104: 820D8057
	v_mfma_f32_16x16x32_fp8_fp8 v[16:19], a[2:3], v[10:11], v[16:19]// 000000006108: D3F30010 0C421502
	s_add_u32 s16, s88, s70                                    // 000000006110: 80104658
	s_addc_u32 s17, s89, 0                                     // 000000006114: 82118059
	v_mfma_f32_16x16x32_fp8_fp8 v[16:19], a[4:5], v[12:13], v[16:19]// 000000006118: D3F30010 0C421904
	buffer_load_dwordx4 a[32:35], v110, s[12:15], 0 offen      // 000000006120: E05C1000 8083206E
	v_mfma_f32_16x16x32_fp8_fp8 v[16:19], a[6:7], v[14:15], v[16:19]// 000000006128: D3F30010 0C421D06
	s_add_u32 s20, s90, s71                                    // 000000006130: 8014475A
	s_addc_u32 s21, s91, 0                                     // 000000006134: 8215805B
	v_mfma_f32_16x16x32_fp8_fp8 v[20:23], a[8:9], v[8:9], 0    // 000000006138: D3F30014 0A021108
	s_add_u32 s24, s92, s71                                    // 000000006140: 8018475C
	s_addc_u32 s25, s93, 0                                     // 000000006144: 8219805D
	v_mfma_f32_16x16x32_fp8_fp8 v[20:23], a[10:11], v[10:11], v[20:23]// 000000006148: D3F30014 0C52150A
	s_mul_i32 s69, s59, s50                                    // 000000006150: 9245323B
	s_mul_i32 s71, s59, s66                                    // 000000006154: 9247423B
	v_mfma_f32_16x16x32_fp8_fp8 v[20:23], a[12:13], v[12:13], v[20:23]// 000000006158: D3F30014 0C52190C
	buffer_load_dwordx4 a[36:39], v111, s[12:15], 0 offen      // 000000006160: E05C1000 8083246F
	v_mfma_f32_16x16x32_fp8_fp8 v[20:23], a[14:15], v[14:15], v[20:23]// 000000006168: D3F30014 0C521D0E
	s_mul_i32 s54, s78, s51                                    // 000000006170: 9236334E
	s_add_u32 s69, s69, s54                                    // 000000006174: 80453645
	v_mfma_f32_16x16x32_fp8_fp8 v[24:27], a[16:17], v[8:9], 0  // 000000006178: D3F30018 0A021110
	s_mov_b32 s70, s69                                         // 000000006180: BEC60045
	v_mfma_f32_16x16x32_fp8_fp8 v[24:27], a[18:19], v[10:11], v[24:27]// 000000006184: D3F30018 0C621512
	s_mul_i32 s54, s78, s100                                   // 00000000618C: 9236644E
	s_add_u32 s71, s71, s54                                    // 000000006190: 80473647
	v_mfma_f32_16x16x32_fp8_fp8 v[24:27], a[20:21], v[12:13], v[24:27]// 000000006194: D3F30018 0C621914
	buffer_load_dwordx4 a[40:43], v110, s[12:15], 0 offen offset:1024// 00000000619C: E05C1400 8083286E
	v_mfma_f32_16x16x32_fp8_fp8 v[24:27], a[22:23], v[14:15], v[24:27]// 0000000061A4: D3F30018 0C621D16
	v_mfma_f32_16x16x32_fp8_fp8 v[28:31], a[24:25], v[8:9], 0  // 0000000061AC: D3F3001C 0A021118
	v_mfma_f32_16x16x32_fp8_fp8 v[28:31], a[26:27], v[10:11], v[28:31]// 0000000061B4: D3F3001C 0C72151A
	v_mfma_f32_16x16x32_fp8_fp8 v[28:31], a[28:29], v[12:13], v[28:31]// 0000000061BC: D3F3001C 0C72191C
	buffer_load_dwordx4 a[44:47], v111, s[12:15], 0 offen offset:1024// 0000000061C4: E05C1400 80832C6F
	v_mfma_f32_16x16x32_fp8_fp8 v[28:31], a[30:31], v[14:15], v[28:31]// 0000000061CC: D3F3001C 0C721D1E
	s_waitcnt vmcnt(12)                                        // 0000000061D4: BF8C0F7C
	v_pk_mul_f32 v[16:17], v[64:65], v[16:17]                  // 0000000061D8: D3B14010 18022140
	v_pk_mul_f32 v[18:19], v[64:65], v[18:19]                  // 0000000061E0: D3B14012 18022540
	v_mul_f32_dpp v16, v66, v16 row_newbcast:0 row_mask:0xf bank_mask:0xf// 0000000061E8: 0A2020FA FF015042
	v_mul_f32_dpp v17, v66, v17 row_newbcast:1 row_mask:0xf bank_mask:0xf// 0000000061F0: 0A2222FA FF015142
	v_mul_f32_dpp v18, v66, v18 row_newbcast:2 row_mask:0xf bank_mask:0xf// 0000000061F8: 0A2424FA FF015242
	v_mul_f32_dpp v19, v66, v19 row_newbcast:3 row_mask:0xf bank_mask:0xf// 000000006200: 0A2626FA FF015342
	v_pk_mul_f32 v[20:21], v[64:65], v[20:21]                  // 000000006208: D3B14014 18022940
	v_pk_mul_f32 v[22:23], v[64:65], v[22:23]                  // 000000006210: D3B14016 18022D40
	v_mul_f32_dpp v20, v66, v20 row_newbcast:4 row_mask:0xf bank_mask:0xf// 000000006218: 0A2828FA FF015442
	v_mul_f32_dpp v21, v66, v21 row_newbcast:5 row_mask:0xf bank_mask:0xf// 000000006220: 0A2A2AFA FF015542
	v_mul_f32_dpp v22, v66, v22 row_newbcast:6 row_mask:0xf bank_mask:0xf// 000000006228: 0A2C2CFA FF015642
	v_mul_f32_dpp v23, v66, v23 row_newbcast:7 row_mask:0xf bank_mask:0xf// 000000006230: 0A2E2EFA FF015742
	v_pk_mul_f32 v[24:25], v[64:65], v[24:25]                  // 000000006238: D3B14018 18023140
	v_pk_mul_f32 v[26:27], v[64:65], v[26:27]                  // 000000006240: D3B1401A 18023540
	v_mul_f32_dpp v24, v66, v24 row_newbcast:8 row_mask:0xf bank_mask:0xf// 000000006248: 0A3030FA FF015842
	v_mul_f32_dpp v25, v66, v25 row_newbcast:9 row_mask:0xf bank_mask:0xf// 000000006250: 0A3232FA FF015942
	v_mul_f32_dpp v26, v66, v26 row_newbcast:10 row_mask:0xf bank_mask:0xf// 000000006258: 0A3434FA FF015A42
	v_mul_f32_dpp v27, v66, v27 row_newbcast:11 row_mask:0xf bank_mask:0xf// 000000006260: 0A3636FA FF015B42
	v_pk_mul_f32 v[28:29], v[64:65], v[28:29]                  // 000000006268: D3B1401C 18023940
	v_pk_mul_f32 v[30:31], v[64:65], v[30:31]                  // 000000006270: D3B1401E 18023D40
	v_mul_f32_dpp v28, v66, v28 row_newbcast:12 row_mask:0xf bank_mask:0xf// 000000006278: 0A3838FA FF015C42
	v_mul_f32_dpp v29, v66, v29 row_newbcast:13 row_mask:0xf bank_mask:0xf// 000000006280: 0A3A3AFA FF015D42
	v_mul_f32_dpp v30, v66, v30 row_newbcast:14 row_mask:0xf bank_mask:0xf// 000000006288: 0A3C3CFA FF015E42
	v_mul_f32_dpp v31, v66, v31 row_newbcast:15 row_mask:0xf bank_mask:0xf// 000000006290: 0A3E3EFA FF015F42
	buffer_load_dwordx4 a[48:51], v110, s[12:15], 0 offen offset:2048// 000000006298: E05C1800 8083306E
	v_mov_b32_e32 v92, v16                                     // 0000000062A0: 7EB80310
	v_max3_f32 v92, v16, v17, v92                              // 0000000062A4: D1D3005C 05722310
	v_max3_f32 v92, v18, v19, v92                              // 0000000062AC: D1D3005C 05722712
	v_max3_f32 v92, v20, v21, v92                              // 0000000062B4: D1D3005C 05722B14
	v_max3_f32 v92, v22, v23, v92                              // 0000000062BC: D1D3005C 05722F16
	v_max3_f32 v92, v24, v25, v92                              // 0000000062C4: D1D3005C 05723318
	v_max3_f32 v92, v26, v27, v92                              // 0000000062CC: D1D3005C 0572371A
	v_max3_f32 v92, v28, v29, v92                              // 0000000062D4: D1D3005C 05723B1C
	v_max3_f32 v92, v30, v31, v92                              // 0000000062DC: D1D3005C 05723F1E
	ds_write_b32 v128, v92                                     // 0000000062E4: D81A0000 00005C80
	v_pk_mul_f32 v[56:57], v[94:95], v[56:57]                  // 0000000062EC: D3B14038 1802715E
	v_pk_mul_f32 v[58:59], v[94:95], v[58:59]                  // 0000000062F4: D3B1403A 1802755E
	v_pk_mul_f32 v[60:61], v[94:95], v[60:61]                  // 0000000062FC: D3B1403C 1802795E
	v_pk_mul_f32 v[62:63], v[94:95], v[62:63]                  // 000000006304: D3B1403E 18027D5E
	buffer_load_dwordx4 a[52:55], v111, s[12:15], 0 offen offset:2048// 00000000630C: E05C1800 8083346F
	s_waitcnt lgkmcnt(0)                                       // 000000006314: BF8CC07F
	s_barrier                                                  // 000000006318: BF8A0000
	v_pk_mul_f32 v[48:49], v[70:71], v[48:49]                  // 00000000631C: D3B14030 18026146
	v_pk_mul_f32 v[50:51], v[70:71], v[50:51]                  // 000000006324: D3B14032 18026546
	v_pk_mul_f32 v[52:53], v[70:71], v[52:53]                  // 00000000632C: D3B14034 18026946
	v_pk_mul_f32 v[54:55], v[70:71], v[54:55]                  // 000000006334: D3B14036 18026D46
	buffer_load_dwordx4 a[56:59], v110, s[12:15], 0 offen offset:3072// 00000000633C: E05C1C00 8083386E
	ds_read_b32 v76, v129                                      // 000000006344: D86C0000 4C000081
	ds_read_b32 v77, v129 offset:64                            // 00000000634C: D86C0040 4D000081
	ds_read_b32 v78, v129 offset:128                           // 000000006354: D86C0080 4E000081
	ds_read_b32 v79, v129 offset:192                           // 00000000635C: D86C00C0 4F000081
	ds_read_b32 v80, v129 offset:256                           // 000000006364: D86C0100 50000081
	ds_read_b32 v81, v129 offset:320                           // 00000000636C: D86C0140 51000081
	ds_read_b32 v82, v129 offset:384                           // 000000006374: D86C0180 52000081
	ds_read_b32 v83, v129 offset:448                           // 00000000637C: D86C01C0 53000081
	ds_read_b32 v84, v129 offset:512                           // 000000006384: D86C0200 54000081
	ds_read_b32 v85, v129 offset:576                           // 00000000638C: D86C0240 55000081
	ds_read_b32 v86, v129 offset:640                           // 000000006394: D86C0280 56000081
	ds_read_b32 v87, v129 offset:704                           // 00000000639C: D86C02C0 57000081
	ds_read_b32 v88, v129 offset:768                           // 0000000063A4: D86C0300 58000081
	ds_read_b32 v89, v129 offset:832                           // 0000000063AC: D86C0340 59000081
	ds_read_b32 v90, v129 offset:896                           // 0000000063B4: D86C0380 5A000081
	ds_read_b32 v91, v129 offset:960                           // 0000000063BC: D86C03C0 5B000081
	buffer_load_dwordx4 a[60:63], v111, s[12:15], 0 offen offset:3072// 0000000063C4: E05C1C00 80833C6F
	s_waitcnt lgkmcnt(0)                                       // 0000000063CC: BF8CC07F
	v_max3_f32 v92, v76, v77, v92                              // 0000000063D0: D1D3005C 05729B4C
	v_max3_f32 v92, v78, v79, v92                              // 0000000063D8: D1D3005C 05729F4E
	v_max3_f32 v92, v80, v81, v92                              // 0000000063E0: D1D3005C 0572A350
	v_max3_f32 v92, v82, v83, v92                              // 0000000063E8: D1D3005C 0572A752
	v_max3_f32 v92, v84, v85, v92                              // 0000000063F0: D1D3005C 0572AB54
	v_max3_f32 v92, v86, v87, v92                              // 0000000063F8: D1D3005C 0572AF56
	v_max3_f32 v92, v88, v89, v92                              // 000000006400: D1D3005C 0572B358
	v_max3_f32 v92, v90, v91, v92                              // 000000006408: D1D3005C 0572B75A
	v_max_f32_e32 v97, v92, v96                                // 000000006410: 16C2C15C
	v_mul_f32_e64 v72, -s46, v97                               // 000000006414: D1050048 2002C22E
	v_mov_b32_e32 v73, v72                                     // 00000000641C: 7E920348
	v_pk_fma_f32 v[16:17], v[16:17], s[46:47], v[72:73]        // 000000006420: D3B04010 1D205D10
	v_pk_fma_f32 v[18:19], v[18:19], s[46:47], v[72:73]        // 000000006428: D3B04012 1D205D12
	v_exp_f32_e32 v16, v16                                     // 000000006430: 7E204110
	v_exp_f32_e32 v17, v17                                     // 000000006434: 7E224111
	v_exp_f32_e32 v18, v18                                     // 000000006438: 7E244112
	v_exp_f32_e32 v19, v19                                     // 00000000643C: 7E264113
	v_pk_fma_f32 v[20:21], v[20:21], s[46:47], v[72:73]        // 000000006440: D3B04014 1D205D14
	v_pk_fma_f32 v[22:23], v[22:23], s[46:47], v[72:73]        // 000000006448: D3B04016 1D205D16
	v_exp_f32_e32 v20, v20                                     // 000000006450: 7E284114
	v_exp_f32_e32 v21, v21                                     // 000000006454: 7E2A4115
	v_exp_f32_e32 v22, v22                                     // 000000006458: 7E2C4116
	v_exp_f32_e32 v23, v23                                     // 00000000645C: 7E2E4117
	v_pk_fma_f32 v[24:25], v[24:25], s[46:47], v[72:73]        // 000000006460: D3B04018 1D205D18
	v_pk_fma_f32 v[26:27], v[26:27], s[46:47], v[72:73]        // 000000006468: D3B0401A 1D205D1A
	v_exp_f32_e32 v24, v24                                     // 000000006470: 7E304118
	v_exp_f32_e32 v25, v25                                     // 000000006474: 7E324119
	v_exp_f32_e32 v26, v26                                     // 000000006478: 7E34411A
	v_exp_f32_e32 v27, v27                                     // 00000000647C: 7E36411B
	v_pk_fma_f32 v[28:29], v[28:29], s[46:47], v[72:73]        // 000000006480: D3B0401C 1D205D1C
	v_pk_fma_f32 v[30:31], v[30:31], s[46:47], v[72:73]        // 000000006488: D3B0401E 1D205D1E
	v_exp_f32_e32 v28, v28                                     // 000000006490: 7E38411C
	v_exp_f32_e32 v29, v29                                     // 000000006494: 7E3A411D
	v_exp_f32_e32 v30, v30                                     // 000000006498: 7E3C411E
	v_exp_f32_e32 v31, v31                                     // 00000000649C: 7E3E411F
	v_mul_f32_dpp v32, v68, v16 row_newbcast:0 row_mask:0xf bank_mask:0xf// 0000000064A0: 0A4020FA FF015044
	v_mul_f32_dpp v33, v68, v17 row_newbcast:1 row_mask:0xf bank_mask:0xf// 0000000064A8: 0A4222FA FF015144
	v_mul_f32_dpp v34, v68, v18 row_newbcast:2 row_mask:0xf bank_mask:0xf// 0000000064B0: 0A4424FA FF015244
	v_mul_f32_dpp v35, v68, v19 row_newbcast:3 row_mask:0xf bank_mask:0xf// 0000000064B8: 0A4626FA FF015344
	v_mul_f32_dpp v36, v68, v20 row_newbcast:4 row_mask:0xf bank_mask:0xf// 0000000064C0: 0A4828FA FF015444
	v_mul_f32_dpp v37, v68, v21 row_newbcast:5 row_mask:0xf bank_mask:0xf// 0000000064C8: 0A4A2AFA FF015544
	v_mul_f32_dpp v38, v68, v22 row_newbcast:6 row_mask:0xf bank_mask:0xf// 0000000064D0: 0A4C2CFA FF015644
	v_mul_f32_dpp v39, v68, v23 row_newbcast:7 row_mask:0xf bank_mask:0xf// 0000000064D8: 0A4E2EFA FF015744
	v_mul_f32_dpp v40, v68, v24 row_newbcast:8 row_mask:0xf bank_mask:0xf// 0000000064E0: 0A5030FA FF015844
	v_mul_f32_dpp v41, v68, v25 row_newbcast:9 row_mask:0xf bank_mask:0xf// 0000000064E8: 0A5232FA FF015944
	v_mul_f32_dpp v42, v68, v26 row_newbcast:10 row_mask:0xf bank_mask:0xf// 0000000064F0: 0A5434FA FF015A44
	v_mul_f32_dpp v43, v68, v27 row_newbcast:11 row_mask:0xf bank_mask:0xf// 0000000064F8: 0A5636FA FF015B44
	v_mul_f32_dpp v44, v68, v28 row_newbcast:12 row_mask:0xf bank_mask:0xf// 000000006500: 0A5838FA FF015C44
	v_mul_f32_dpp v45, v68, v29 row_newbcast:13 row_mask:0xf bank_mask:0xf// 000000006508: 0A5A3AFA FF015D44
	v_mul_f32_dpp v46, v68, v30 row_newbcast:14 row_mask:0xf bank_mask:0xf// 000000006510: 0A5C3CFA FF015E44
	v_mul_f32_dpp v47, v68, v31 row_newbcast:15 row_mask:0xf bank_mask:0xf// 000000006518: 0A5E3EFA FF015F44
	v_mov_b32_e32 v92, 0x358637bd                              // 000000006520: 7EB802FF 358637BD
	v_max3_f32 v92, |v32|, |v33|, v92                          // 000000006528: D1D3035C 05724320
	v_max3_f32 v92, |v34|, |v35|, v92                          // 000000006530: D1D3035C 05724722
	v_max3_f32 v92, |v36|, |v37|, v92                          // 000000006538: D1D3035C 05724B24
	v_max3_f32 v92, |v38|, |v39|, v92                          // 000000006540: D1D3035C 05724F26
	v_max3_f32 v92, |v40|, |v41|, v92                          // 000000006548: D1D3035C 05725328
	v_max3_f32 v92, |v42|, |v43|, v92                          // 000000006550: D1D3035C 0572572A
	v_max3_f32 v92, |v44|, |v45|, v92                          // 000000006558: D1D3035C 05725B2C
	v_max3_f32 v92, |v46|, |v47|, v92                          // 000000006560: D1D3035C 05725F2E
	ds_write_b32 v128, v92 offset:1280                         // 000000006568: D81A0500 00005C80
	buffer_load_dword v67, v116, s[20:23], 0 offen             // 000000006570: E0501000 80054374
	v_sub_f32_e32 v94, v96, v97                                // 000000006578: 04BCC360
	v_cmp_eq_u32_e64 s[98:99], v107, v96                       // 00000000657C: D0CA0062 0002C16B
	s_nop 0                                                    // 000000006584: BF800000
	v_cndmask_b32_e64 v94, v94, 0, s[98:99]                    // 000000006588: D100005E 0189015E
	v_mov_b32_e32 v96, v97                                     // 000000006590: 7EC00361
	v_mul_f32_e32 v94, s46, v94                                // 000000006594: 0ABCBC2E
	v_exp_f32_e32 v94, v94                                     // 000000006598: 7EBC415E
	s_nop 0                                                    // 00000000659C: BF800000
	v_mov_b32_e32 v95, v94                                     // 0000000065A0: 7EBE035E
	buffer_load_dword v69, v117, s[24:27], 0 offen             // 0000000065A4: E0501000 80064575
	s_waitcnt lgkmcnt(0)                                       // 0000000065AC: BF8CC07F
	s_barrier                                                  // 0000000065B0: BF8A0000
	v_mul_f32_e32 v98, v94, v98                                // 0000000065B4: 0AC4C55E
	v_add_f32_e32 v98, v16, v98                                // 0000000065B8: 02C4C510
	v_add_f32_e32 v98, v17, v98                                // 0000000065BC: 02C4C511
	v_add_f32_e32 v98, v18, v98                                // 0000000065C0: 02C4C512
	v_add_f32_e32 v98, v19, v98                                // 0000000065C4: 02C4C513
	v_add_f32_e32 v98, v20, v98                                // 0000000065C8: 02C4C514
	v_add_f32_e32 v98, v21, v98                                // 0000000065CC: 02C4C515
	v_add_f32_e32 v98, v22, v98                                // 0000000065D0: 02C4C516
	v_add_f32_e32 v98, v23, v98                                // 0000000065D4: 02C4C517
	v_add_f32_e32 v98, v24, v98                                // 0000000065D8: 02C4C518
	v_add_f32_e32 v98, v25, v98                                // 0000000065DC: 02C4C519
	v_add_f32_e32 v98, v26, v98                                // 0000000065E0: 02C4C51A
	v_add_f32_e32 v98, v27, v98                                // 0000000065E4: 02C4C51B
	v_add_f32_e32 v98, v28, v98                                // 0000000065E8: 02C4C51C
	v_add_f32_e32 v98, v29, v98                                // 0000000065EC: 02C4C51D
	v_add_f32_e32 v98, v30, v98                                // 0000000065F0: 02C4C51E
	v_add_f32_e32 v98, v31, v98                                // 0000000065F4: 02C4C51F
	buffer_load_dwordx4 a[100:103], v113, s[16:19], 0 offen    // 0000000065F8: E05C1000 80846471
	ds_read_b32 v76, v129 offset:1280                          // 000000006600: D86C0500 4C000081
	ds_read_b32 v77, v129 offset:1344                          // 000000006608: D86C0540 4D000081
	ds_read_b32 v78, v129 offset:1408                          // 000000006610: D86C0580 4E000081
	ds_read_b32 v79, v129 offset:1472                          // 000000006618: D86C05C0 4F000081
	ds_read_b32 v80, v129 offset:1536                          // 000000006620: D86C0600 50000081
	ds_read_b32 v81, v129 offset:1600                          // 000000006628: D86C0640 51000081
	ds_read_b32 v82, v129 offset:1664                          // 000000006630: D86C0680 52000081
	ds_read_b32 v83, v129 offset:1728                          // 000000006638: D86C06C0 53000081
	ds_read_b32 v84, v129 offset:1792                          // 000000006640: D86C0700 54000081
	ds_read_b32 v85, v129 offset:1856                          // 000000006648: D86C0740 55000081
	ds_read_b32 v86, v129 offset:1920                          // 000000006650: D86C0780 56000081
	ds_read_b32 v87, v129 offset:1984                          // 000000006658: D86C07C0 57000081
	ds_read_b32 v88, v129 offset:2048                          // 000000006660: D86C0800 58000081
	ds_read_b32 v89, v129 offset:2112                          // 000000006668: D86C0840 59000081
	ds_read_b32 v90, v129 offset:2176                          // 000000006670: D86C0880 5A000081
	ds_read_b32 v91, v129 offset:2240                          // 000000006678: D86C08C0 5B000081
	buffer_load_dwordx4 a[96:99], v112, s[16:19], 0 offen      // 000000006680: E05C1000 80846070
	s_waitcnt lgkmcnt(0)                                       // 000000006688: BF8CC07F
	v_max3_f32 v92, v76, v77, v92                              // 00000000668C: D1D3005C 05729B4C
	v_max3_f32 v92, v78, v79, v92                              // 000000006694: D1D3005C 05729F4E
	v_max3_f32 v92, v80, v81, v92                              // 00000000669C: D1D3005C 0572A350
	v_max3_f32 v92, v82, v83, v92                              // 0000000066A4: D1D3005C 0572A752
	v_max3_f32 v92, v84, v85, v92                              // 0000000066AC: D1D3005C 0572AB54
	v_max3_f32 v92, v86, v87, v92                              // 0000000066B4: D1D3005C 0572AF56
	v_max3_f32 v92, v88, v89, v92                              // 0000000066BC: D1D3005C 0572B358
	v_max3_f32 v92, v90, v91, v92                              // 0000000066C4: D1D3005C 0572B75A
	v_rcp_f32_e32 v92, v92                                     // 0000000066CC: 7EB8455C
	s_nop 0                                                    // 0000000066D0: BF800000
	v_mul_f32_e32 v92, 0x43700000, v92                         // 0000000066D4: 0AB8B8FF 43700000
	v_mov_b32_e32 v93, v92                                     // 0000000066DC: 7EBA035C
	v_pk_mul_f32 v[16:17], v[92:93], v[32:33]                  // 0000000066E0: D3B14010 1802415C
	v_pk_mul_f32 v[18:19], v[92:93], v[34:35]                  // 0000000066E8: D3B14012 1802455C
	v_pk_mul_f32 v[20:21], v[92:93], v[36:37]                  // 0000000066F0: D3B14014 1802495C
	v_pk_mul_f32 v[22:23], v[92:93], v[38:39]                  // 0000000066F8: D3B14016 18024D5C
	v_pk_mul_f32 v[24:25], v[92:93], v[40:41]                  // 000000006700: D3B14018 1802515C
	v_pk_mul_f32 v[26:27], v[92:93], v[42:43]                  // 000000006708: D3B1401A 1802555C
	v_pk_mul_f32 v[28:29], v[92:93], v[44:45]                  // 000000006710: D3B1401C 1802595C
	v_pk_mul_f32 v[30:31], v[92:93], v[46:47]                  // 000000006718: D3B1401E 18025D5C
	v_cvt_pk_fp8_f32 v16, v16, v17                             // 000000006720: D2A20010 00022310
	v_cvt_pk_fp8_f32 v16, v18, v19 op_sel:[0,0,1]              // 000000006728: D2A24010 00022712
	v_cvt_pk_fp8_f32 v17, v20, v21                             // 000000006730: D2A20011 00022B14
	v_cvt_pk_fp8_f32 v17, v22, v23 op_sel:[0,0,1]              // 000000006738: D2A24011 00022F16
	v_cvt_pk_fp8_f32 v18, v24, v25                             // 000000006740: D2A20012 00023318
	v_cvt_pk_fp8_f32 v18, v26, v27 op_sel:[0,0,1]              // 000000006748: D2A24012 0002371A
	v_cvt_pk_fp8_f32 v19, v28, v29                             // 000000006750: D2A20013 00023B1C
	v_cvt_pk_fp8_f32 v19, v30, v31 op_sel:[0,0,1]              // 000000006758: D2A24013 00023F1E
	ds_write_b32 v130, v16 offset:2560                         // 000000006760: D81A0A00 00001082
	ds_write_b32 v130, v17 offset:3584                         // 000000006768: D81A0E00 00001182
	ds_write_b32 v130, v18 offset:4608                         // 000000006770: D81A1200 00001282
	ds_write_b32 v130, v19 offset:5632                         // 000000006778: D81A1600 00001382
	v_rcp_f32_e32 v70, v92                                     // 000000006780: 7E8C455C
	s_nop 0                                                    // 000000006784: BF800000
	v_mov_b32_e32 v71, v70                                     // 000000006788: 7E8E0346
	buffer_load_dwordx4 a[104:107], v114, s[16:19], 0 offen    // 00000000678C: E05C1000 80846872
	v_pk_add_f32 v[56:57], v[56:57], v[48:49]                  // 000000006794: D3B24038 18026138
	v_pk_add_f32 v[58:59], v[58:59], v[50:51]                  // 00000000679C: D3B2403A 1802653A
	v_pk_add_f32 v[60:61], v[60:61], v[52:53]                  // 0000000067A4: D3B2403C 1802693C
	v_pk_add_f32 v[62:63], v[62:63], v[54:55]                  // 0000000067AC: D3B2403E 18026D3E
	s_waitcnt lgkmcnt(0)                                       // 0000000067B4: BF8CC07F
	s_barrier                                                  // 0000000067B8: BF8A0000
	ds_read_b128 v[16:19], v131 offset:2560                    // 0000000067BC: D9FE0A00 10000083
	ds_read_b128 v[20:23], v131 offset:3584                    // 0000000067C4: D9FE0E00 14000083
	ds_read_b128 v[24:27], v131 offset:4608                    // 0000000067CC: D9FE1200 18000083
	ds_read_b128 v[28:31], v131 offset:5632                    // 0000000067D4: D9FE1600 1C000083
	buffer_load_dwordx4 a[108:111], v115, s[16:19], 0 offen    // 0000000067DC: E05C1000 80846C73
	s_waitcnt vmcnt(14)                                        // 0000000067E4: BF8C0F7E
	s_waitcnt lgkmcnt(3)                                       // 0000000067E8: BF8CC37F
	v_mfma_f32_16x16x32_fp8_fp8 v[48:51], a[64:65], v[16:17], 0// 0000000067EC: D3F30030 0A022140
	v_mfma_f32_16x16x32_fp8_fp8 v[52:55], a[80:81], v[16:17], 0// 0000000067F4: D3F30034 0A022150
	v_mfma_f32_16x16x32_fp8_fp8 v[48:51], a[66:67], v[18:19], v[48:51]// 0000000067FC: D3F30030 0CC22542
	buffer_load_dwordx4 a[112:115], v112, s[16:19], 0 offen offset:1024// 000000006804: E05C1400 80847070
	v_mfma_f32_16x16x32_fp8_fp8 v[52:55], a[82:83], v[18:19], v[52:55]// 00000000680C: D3F30034 0CD22552
	s_waitcnt lgkmcnt(2)                                       // 000000006814: BF8CC27F
	v_mfma_f32_16x16x32_fp8_fp8 v[48:51], a[68:69], v[20:21], v[48:51]// 000000006818: D3F30030 0CC22944
	v_mfma_f32_16x16x32_fp8_fp8 v[52:55], a[84:85], v[20:21], v[52:55]// 000000006820: D3F30034 0CD22954
	v_mfma_f32_16x16x32_fp8_fp8 v[48:51], a[70:71], v[22:23], v[48:51]// 000000006828: D3F30030 0CC22D46
	buffer_load_dwordx4 a[116:119], v113, s[16:19], 0 offen offset:1024// 000000006830: E05C1400 80847471
	v_mfma_f32_16x16x32_fp8_fp8 v[52:55], a[86:87], v[22:23], v[52:55]// 000000006838: D3F30034 0CD22D56
	s_waitcnt lgkmcnt(1)                                       // 000000006840: BF8CC17F
	v_mfma_f32_16x16x32_fp8_fp8 v[48:51], a[72:73], v[24:25], v[48:51]// 000000006844: D3F30030 0CC23148
	v_mfma_f32_16x16x32_fp8_fp8 v[52:55], a[88:89], v[24:25], v[52:55]// 00000000684C: D3F30034 0CD23158
	v_mfma_f32_16x16x32_fp8_fp8 v[48:51], a[74:75], v[26:27], v[48:51]// 000000006854: D3F30030 0CC2354A
	buffer_load_dwordx4 a[120:123], v114, s[16:19], 0 offen offset:1024// 00000000685C: E05C1400 80847872
	v_mfma_f32_16x16x32_fp8_fp8 v[52:55], a[90:91], v[26:27], v[52:55]// 000000006864: D3F30034 0CD2355A
	s_waitcnt lgkmcnt(0)                                       // 00000000686C: BF8CC07F
	v_mfma_f32_16x16x32_fp8_fp8 v[48:51], a[76:77], v[28:29], v[48:51]// 000000006870: D3F30030 0CC2394C
	v_mfma_f32_16x16x32_fp8_fp8 v[52:55], a[92:93], v[28:29], v[52:55]// 000000006878: D3F30034 0CD2395C
	v_mfma_f32_16x16x32_fp8_fp8 v[48:51], a[78:79], v[30:31], v[48:51]// 000000006880: D3F30030 0CC23D4E
	buffer_load_dwordx4 a[124:127], v115, s[16:19], 0 offen offset:1024// 000000006888: E05C1400 80847C73
	v_mfma_f32_16x16x32_fp8_fp8 v[52:55], a[94:95], v[30:31], v[52:55]// 000000006890: D3F30034 0CD23D5E
	s_addk_i32 s64, 0x100                                      // 000000006898: B7400100
	s_cmp_lt_i32 s64, s63                                      // 00000000689C: BF043F40
	s_cbranch_scc0 label_1DF6                                  // 0000000068A0: BF840DCD
	s_waitcnt vmcnt(10)                                        // 0000000068A4: BF8C0F7A
	v_mfma_f32_16x16x32_fp8_fp8 v[16:19], a[32:33], v[8:9], 0  // 0000000068A8: D3F30010 0A021120
	s_add_u32 s12, s86, s69                                    // 0000000068B0: 800C4556
	s_addc_u32 s13, s87, 0                                     // 0000000068B4: 820D8057
	v_mfma_f32_16x16x32_fp8_fp8 v[16:19], a[34:35], v[10:11], v[16:19]// 0000000068B8: D3F30010 0C421522
	s_add_u32 s16, s88, s70                                    // 0000000068C0: 80104658
	s_addc_u32 s17, s89, 0                                     // 0000000068C4: 82118059
	v_mfma_f32_16x16x32_fp8_fp8 v[16:19], a[36:37], v[12:13], v[16:19]// 0000000068C8: D3F30010 0C421924
	buffer_load_dwordx4 a[0:3], v110, s[12:15], 0 offen        // 0000000068D0: E05C1000 8083006E
	v_mfma_f32_16x16x32_fp8_fp8 v[16:19], a[38:39], v[14:15], v[16:19]// 0000000068D8: D3F30010 0C421D26
	s_add_u32 s20, s90, s71                                    // 0000000068E0: 8014475A
	s_addc_u32 s21, s91, 0                                     // 0000000068E4: 8215805B
	v_mfma_f32_16x16x32_fp8_fp8 v[20:23], a[40:41], v[8:9], 0  // 0000000068E8: D3F30014 0A021128
	s_add_u32 s24, s92, s71                                    // 0000000068F0: 8018475C
	s_addc_u32 s25, s93, 0                                     // 0000000068F4: 8219805D
	v_mfma_f32_16x16x32_fp8_fp8 v[20:23], a[42:43], v[10:11], v[20:23]// 0000000068F8: D3F30014 0C52152A
	s_add_u32 s69, s69, 0x1000                                 // 000000006900: 8045FF45 00001000
	s_add_u32 s70, s70, 0x8000                                 // 000000006908: 8046FF46 00008000
	v_mfma_f32_16x16x32_fp8_fp8 v[20:23], a[44:45], v[12:13], v[20:23]// 000000006910: D3F30014 0C52192C
	buffer_load_dwordx4 a[4:7], v111, s[12:15], 0 offen        // 000000006918: E05C1000 8083046F
	v_mfma_f32_16x16x32_fp8_fp8 v[20:23], a[46:47], v[14:15], v[20:23]// 000000006920: D3F30014 0C521D2E
	s_add_u32 s71, s71, 0x400                                  // 000000006928: 8047FF47 00000400
	v_mfma_f32_16x16x32_fp8_fp8 v[24:27], a[48:49], v[8:9], 0  // 000000006930: D3F30018 0A021130
	v_mfma_f32_16x16x32_fp8_fp8 v[24:27], a[50:51], v[10:11], v[24:27]// 000000006938: D3F30018 0C621532
	v_mfma_f32_16x16x32_fp8_fp8 v[24:27], a[52:53], v[12:13], v[24:27]// 000000006940: D3F30018 0C621934
	buffer_load_dwordx4 a[8:11], v110, s[12:15], 0 offen offset:1024// 000000006948: E05C1400 8083086E
	v_mfma_f32_16x16x32_fp8_fp8 v[24:27], a[54:55], v[14:15], v[24:27]// 000000006950: D3F30018 0C621D36
	v_mfma_f32_16x16x32_fp8_fp8 v[28:31], a[56:57], v[8:9], 0  // 000000006958: D3F3001C 0A021138
	v_mfma_f32_16x16x32_fp8_fp8 v[28:31], a[58:59], v[10:11], v[28:31]// 000000006960: D3F3001C 0C72153A
	v_mfma_f32_16x16x32_fp8_fp8 v[28:31], a[60:61], v[12:13], v[28:31]// 000000006968: D3F3001C 0C72193C
	buffer_load_dwordx4 a[12:15], v111, s[12:15], 0 offen offset:1024// 000000006970: E05C1400 80830C6F
	v_mfma_f32_16x16x32_fp8_fp8 v[28:31], a[62:63], v[14:15], v[28:31]// 000000006978: D3F3001C 0C721D3E
	s_waitcnt vmcnt(12)                                        // 000000006980: BF8C0F7C
	v_pk_mul_f32 v[16:17], v[64:65], v[16:17]                  // 000000006984: D3B14010 18022140
	v_pk_mul_f32 v[18:19], v[64:65], v[18:19]                  // 00000000698C: D3B14012 18022540
	v_mul_f32_dpp v16, v67, v16 row_newbcast:0 row_mask:0xf bank_mask:0xf// 000000006994: 0A2020FA FF015043
	v_mul_f32_dpp v17, v67, v17 row_newbcast:1 row_mask:0xf bank_mask:0xf// 00000000699C: 0A2222FA FF015143
	v_mul_f32_dpp v18, v67, v18 row_newbcast:2 row_mask:0xf bank_mask:0xf// 0000000069A4: 0A2424FA FF015243
	v_mul_f32_dpp v19, v67, v19 row_newbcast:3 row_mask:0xf bank_mask:0xf// 0000000069AC: 0A2626FA FF015343
	v_pk_mul_f32 v[20:21], v[64:65], v[20:21]                  // 0000000069B4: D3B14014 18022940
	v_pk_mul_f32 v[22:23], v[64:65], v[22:23]                  // 0000000069BC: D3B14016 18022D40
	v_mul_f32_dpp v20, v67, v20 row_newbcast:4 row_mask:0xf bank_mask:0xf// 0000000069C4: 0A2828FA FF015443
	v_mul_f32_dpp v21, v67, v21 row_newbcast:5 row_mask:0xf bank_mask:0xf// 0000000069CC: 0A2A2AFA FF015543
	v_mul_f32_dpp v22, v67, v22 row_newbcast:6 row_mask:0xf bank_mask:0xf// 0000000069D4: 0A2C2CFA FF015643
	v_mul_f32_dpp v23, v67, v23 row_newbcast:7 row_mask:0xf bank_mask:0xf// 0000000069DC: 0A2E2EFA FF015743
	v_pk_mul_f32 v[24:25], v[64:65], v[24:25]                  // 0000000069E4: D3B14018 18023140
	v_pk_mul_f32 v[26:27], v[64:65], v[26:27]                  // 0000000069EC: D3B1401A 18023540
	v_mul_f32_dpp v24, v67, v24 row_newbcast:8 row_mask:0xf bank_mask:0xf// 0000000069F4: 0A3030FA FF015843
	v_mul_f32_dpp v25, v67, v25 row_newbcast:9 row_mask:0xf bank_mask:0xf// 0000000069FC: 0A3232FA FF015943
	v_mul_f32_dpp v26, v67, v26 row_newbcast:10 row_mask:0xf bank_mask:0xf// 000000006A04: 0A3434FA FF015A43
	v_mul_f32_dpp v27, v67, v27 row_newbcast:11 row_mask:0xf bank_mask:0xf// 000000006A0C: 0A3636FA FF015B43
	v_pk_mul_f32 v[28:29], v[64:65], v[28:29]                  // 000000006A14: D3B1401C 18023940
	v_pk_mul_f32 v[30:31], v[64:65], v[30:31]                  // 000000006A1C: D3B1401E 18023D40
	v_mul_f32_dpp v28, v67, v28 row_newbcast:12 row_mask:0xf bank_mask:0xf// 000000006A24: 0A3838FA FF015C43
	v_mul_f32_dpp v29, v67, v29 row_newbcast:13 row_mask:0xf bank_mask:0xf// 000000006A2C: 0A3A3AFA FF015D43
	v_mul_f32_dpp v30, v67, v30 row_newbcast:14 row_mask:0xf bank_mask:0xf// 000000006A34: 0A3C3CFA FF015E43
	v_mul_f32_dpp v31, v67, v31 row_newbcast:15 row_mask:0xf bank_mask:0xf// 000000006A3C: 0A3E3EFA FF015F43
	buffer_load_dwordx4 a[16:19], v110, s[12:15], 0 offen offset:2048// 000000006A44: E05C1800 8083106E
	v_mov_b32_e32 v92, v16                                     // 000000006A4C: 7EB80310
	v_max3_f32 v92, v16, v17, v92                              // 000000006A50: D1D3005C 05722310
	v_max3_f32 v92, v18, v19, v92                              // 000000006A58: D1D3005C 05722712
	v_max3_f32 v92, v20, v21, v92                              // 000000006A60: D1D3005C 05722B14
	v_max3_f32 v92, v22, v23, v92                              // 000000006A68: D1D3005C 05722F16
	v_max3_f32 v92, v24, v25, v92                              // 000000006A70: D1D3005C 05723318
	v_max3_f32 v92, v26, v27, v92                              // 000000006A78: D1D3005C 0572371A
	v_max3_f32 v92, v28, v29, v92                              // 000000006A80: D1D3005C 05723B1C
	v_max3_f32 v92, v30, v31, v92                              // 000000006A88: D1D3005C 05723F1E
	ds_write_b32 v128, v92                                     // 000000006A90: D81A0000 00005C80
	v_pk_mul_f32 v[56:57], v[94:95], v[56:57]                  // 000000006A98: D3B14038 1802715E
	v_pk_mul_f32 v[58:59], v[94:95], v[58:59]                  // 000000006AA0: D3B1403A 1802755E
	v_pk_mul_f32 v[60:61], v[94:95], v[60:61]                  // 000000006AA8: D3B1403C 1802795E
	v_pk_mul_f32 v[62:63], v[94:95], v[62:63]                  // 000000006AB0: D3B1403E 18027D5E
	buffer_load_dwordx4 a[20:23], v111, s[12:15], 0 offen offset:2048// 000000006AB8: E05C1800 8083146F
	s_waitcnt lgkmcnt(0)                                       // 000000006AC0: BF8CC07F
	s_barrier                                                  // 000000006AC4: BF8A0000
	v_pk_mul_f32 v[48:49], v[70:71], v[48:49]                  // 000000006AC8: D3B14030 18026146
	v_pk_mul_f32 v[50:51], v[70:71], v[50:51]                  // 000000006AD0: D3B14032 18026546
	v_pk_mul_f32 v[52:53], v[70:71], v[52:53]                  // 000000006AD8: D3B14034 18026946
	v_pk_mul_f32 v[54:55], v[70:71], v[54:55]                  // 000000006AE0: D3B14036 18026D46
	buffer_load_dwordx4 a[24:27], v110, s[12:15], 0 offen offset:3072// 000000006AE8: E05C1C00 8083186E
	ds_read_b32 v76, v129                                      // 000000006AF0: D86C0000 4C000081
	ds_read_b32 v77, v129 offset:64                            // 000000006AF8: D86C0040 4D000081
	ds_read_b32 v78, v129 offset:128                           // 000000006B00: D86C0080 4E000081
	ds_read_b32 v79, v129 offset:192                           // 000000006B08: D86C00C0 4F000081
	ds_read_b32 v80, v129 offset:256                           // 000000006B10: D86C0100 50000081
	ds_read_b32 v81, v129 offset:320                           // 000000006B18: D86C0140 51000081
	ds_read_b32 v82, v129 offset:384                           // 000000006B20: D86C0180 52000081
	ds_read_b32 v83, v129 offset:448                           // 000000006B28: D86C01C0 53000081
	ds_read_b32 v84, v129 offset:512                           // 000000006B30: D86C0200 54000081
	ds_read_b32 v85, v129 offset:576                           // 000000006B38: D86C0240 55000081
	ds_read_b32 v86, v129 offset:640                           // 000000006B40: D86C0280 56000081
	ds_read_b32 v87, v129 offset:704                           // 000000006B48: D86C02C0 57000081
	ds_read_b32 v88, v129 offset:768                           // 000000006B50: D86C0300 58000081
	ds_read_b32 v89, v129 offset:832                           // 000000006B58: D86C0340 59000081
	ds_read_b32 v90, v129 offset:896                           // 000000006B60: D86C0380 5A000081
	ds_read_b32 v91, v129 offset:960                           // 000000006B68: D86C03C0 5B000081
	buffer_load_dwordx4 a[28:31], v111, s[12:15], 0 offen offset:3072// 000000006B70: E05C1C00 80831C6F
	s_waitcnt lgkmcnt(0)                                       // 000000006B78: BF8CC07F
	v_max3_f32 v92, v76, v77, v92                              // 000000006B7C: D1D3005C 05729B4C
	v_max3_f32 v92, v78, v79, v92                              // 000000006B84: D1D3005C 05729F4E
	v_max3_f32 v92, v80, v81, v92                              // 000000006B8C: D1D3005C 0572A350
	v_max3_f32 v92, v82, v83, v92                              // 000000006B94: D1D3005C 0572A752
	v_max3_f32 v92, v84, v85, v92                              // 000000006B9C: D1D3005C 0572AB54
	v_max3_f32 v92, v86, v87, v92                              // 000000006BA4: D1D3005C 0572AF56
	v_max3_f32 v92, v88, v89, v92                              // 000000006BAC: D1D3005C 0572B358
	v_max3_f32 v92, v90, v91, v92                              // 000000006BB4: D1D3005C 0572B75A
	v_max_f32_e32 v97, v92, v96                                // 000000006BBC: 16C2C15C
	v_mul_f32_e64 v72, -s46, v97                               // 000000006BC0: D1050048 2002C22E
	v_mov_b32_e32 v73, v72                                     // 000000006BC8: 7E920348
	v_pk_fma_f32 v[16:17], v[16:17], s[46:47], v[72:73]        // 000000006BCC: D3B04010 1D205D10
	v_pk_fma_f32 v[18:19], v[18:19], s[46:47], v[72:73]        // 000000006BD4: D3B04012 1D205D12
	v_exp_f32_e32 v16, v16                                     // 000000006BDC: 7E204110
	v_exp_f32_e32 v17, v17                                     // 000000006BE0: 7E224111
	v_exp_f32_e32 v18, v18                                     // 000000006BE4: 7E244112
	v_exp_f32_e32 v19, v19                                     // 000000006BE8: 7E264113
	v_pk_fma_f32 v[20:21], v[20:21], s[46:47], v[72:73]        // 000000006BEC: D3B04014 1D205D14
	v_pk_fma_f32 v[22:23], v[22:23], s[46:47], v[72:73]        // 000000006BF4: D3B04016 1D205D16
	v_exp_f32_e32 v20, v20                                     // 000000006BFC: 7E284114
	v_exp_f32_e32 v21, v21                                     // 000000006C00: 7E2A4115
	v_exp_f32_e32 v22, v22                                     // 000000006C04: 7E2C4116
	v_exp_f32_e32 v23, v23                                     // 000000006C08: 7E2E4117
	v_pk_fma_f32 v[24:25], v[24:25], s[46:47], v[72:73]        // 000000006C0C: D3B04018 1D205D18
	v_pk_fma_f32 v[26:27], v[26:27], s[46:47], v[72:73]        // 000000006C14: D3B0401A 1D205D1A
	v_exp_f32_e32 v24, v24                                     // 000000006C1C: 7E304118
	v_exp_f32_e32 v25, v25                                     // 000000006C20: 7E324119
	v_exp_f32_e32 v26, v26                                     // 000000006C24: 7E34411A
	v_exp_f32_e32 v27, v27                                     // 000000006C28: 7E36411B
	v_pk_fma_f32 v[28:29], v[28:29], s[46:47], v[72:73]        // 000000006C2C: D3B0401C 1D205D1C
	v_pk_fma_f32 v[30:31], v[30:31], s[46:47], v[72:73]        // 000000006C34: D3B0401E 1D205D1E
	v_exp_f32_e32 v28, v28                                     // 000000006C3C: 7E38411C
	v_exp_f32_e32 v29, v29                                     // 000000006C40: 7E3A411D
	v_exp_f32_e32 v30, v30                                     // 000000006C44: 7E3C411E
	v_exp_f32_e32 v31, v31                                     // 000000006C48: 7E3E411F
	v_mul_f32_dpp v32, v69, v16 row_newbcast:0 row_mask:0xf bank_mask:0xf// 000000006C4C: 0A4020FA FF015045
	v_mul_f32_dpp v33, v69, v17 row_newbcast:1 row_mask:0xf bank_mask:0xf// 000000006C54: 0A4222FA FF015145
	v_mul_f32_dpp v34, v69, v18 row_newbcast:2 row_mask:0xf bank_mask:0xf// 000000006C5C: 0A4424FA FF015245
	v_mul_f32_dpp v35, v69, v19 row_newbcast:3 row_mask:0xf bank_mask:0xf// 000000006C64: 0A4626FA FF015345
	v_mul_f32_dpp v36, v69, v20 row_newbcast:4 row_mask:0xf bank_mask:0xf// 000000006C6C: 0A4828FA FF015445
	v_mul_f32_dpp v37, v69, v21 row_newbcast:5 row_mask:0xf bank_mask:0xf// 000000006C74: 0A4A2AFA FF015545
	v_mul_f32_dpp v38, v69, v22 row_newbcast:6 row_mask:0xf bank_mask:0xf// 000000006C7C: 0A4C2CFA FF015645
	v_mul_f32_dpp v39, v69, v23 row_newbcast:7 row_mask:0xf bank_mask:0xf// 000000006C84: 0A4E2EFA FF015745
	v_mul_f32_dpp v40, v69, v24 row_newbcast:8 row_mask:0xf bank_mask:0xf// 000000006C8C: 0A5030FA FF015845
	v_mul_f32_dpp v41, v69, v25 row_newbcast:9 row_mask:0xf bank_mask:0xf// 000000006C94: 0A5232FA FF015945
	v_mul_f32_dpp v42, v69, v26 row_newbcast:10 row_mask:0xf bank_mask:0xf// 000000006C9C: 0A5434FA FF015A45
	v_mul_f32_dpp v43, v69, v27 row_newbcast:11 row_mask:0xf bank_mask:0xf// 000000006CA4: 0A5636FA FF015B45
	v_mul_f32_dpp v44, v69, v28 row_newbcast:12 row_mask:0xf bank_mask:0xf// 000000006CAC: 0A5838FA FF015C45
	v_mul_f32_dpp v45, v69, v29 row_newbcast:13 row_mask:0xf bank_mask:0xf// 000000006CB4: 0A5A3AFA FF015D45
	v_mul_f32_dpp v46, v69, v30 row_newbcast:14 row_mask:0xf bank_mask:0xf// 000000006CBC: 0A5C3CFA FF015E45
	v_mul_f32_dpp v47, v69, v31 row_newbcast:15 row_mask:0xf bank_mask:0xf// 000000006CC4: 0A5E3EFA FF015F45
	v_mov_b32_e32 v92, 0x358637bd                              // 000000006CCC: 7EB802FF 358637BD
	v_max3_f32 v92, |v32|, |v33|, v92                          // 000000006CD4: D1D3035C 05724320
	v_max3_f32 v92, |v34|, |v35|, v92                          // 000000006CDC: D1D3035C 05724722
	v_max3_f32 v92, |v36|, |v37|, v92                          // 000000006CE4: D1D3035C 05724B24
	v_max3_f32 v92, |v38|, |v39|, v92                          // 000000006CEC: D1D3035C 05724F26
	v_max3_f32 v92, |v40|, |v41|, v92                          // 000000006CF4: D1D3035C 05725328
	v_max3_f32 v92, |v42|, |v43|, v92                          // 000000006CFC: D1D3035C 0572572A
	v_max3_f32 v92, |v44|, |v45|, v92                          // 000000006D04: D1D3035C 05725B2C
	v_max3_f32 v92, |v46|, |v47|, v92                          // 000000006D0C: D1D3035C 05725F2E
	ds_write_b32 v128, v92 offset:1280                         // 000000006D14: D81A0500 00005C80
	buffer_load_dword v66, v116, s[20:23], 0 offen             // 000000006D1C: E0501000 80054274
	v_sub_f32_e32 v94, v96, v97                                // 000000006D24: 04BCC360
	v_cmp_eq_u32_e64 s[98:99], v107, v96                       // 000000006D28: D0CA0062 0002C16B
	s_nop 0                                                    // 000000006D30: BF800000
	v_cndmask_b32_e64 v94, v94, 0, s[98:99]                    // 000000006D34: D100005E 0189015E
	v_mov_b32_e32 v96, v97                                     // 000000006D3C: 7EC00361
	v_mul_f32_e32 v94, s46, v94                                // 000000006D40: 0ABCBC2E
	v_exp_f32_e32 v94, v94                                     // 000000006D44: 7EBC415E
	s_nop 0                                                    // 000000006D48: BF800000
	v_mov_b32_e32 v95, v94                                     // 000000006D4C: 7EBE035E
	buffer_load_dword v68, v117, s[24:27], 0 offen             // 000000006D50: E0501000 80064475
	s_waitcnt lgkmcnt(0)                                       // 000000006D58: BF8CC07F
	s_barrier                                                  // 000000006D5C: BF8A0000
	v_mul_f32_e32 v98, v94, v98                                // 000000006D60: 0AC4C55E
	v_add_f32_e32 v98, v16, v98                                // 000000006D64: 02C4C510
	v_add_f32_e32 v98, v17, v98                                // 000000006D68: 02C4C511
	v_add_f32_e32 v98, v18, v98                                // 000000006D6C: 02C4C512
	v_add_f32_e32 v98, v19, v98                                // 000000006D70: 02C4C513
	v_add_f32_e32 v98, v20, v98                                // 000000006D74: 02C4C514
	v_add_f32_e32 v98, v21, v98                                // 000000006D78: 02C4C515
	v_add_f32_e32 v98, v22, v98                                // 000000006D7C: 02C4C516
	v_add_f32_e32 v98, v23, v98                                // 000000006D80: 02C4C517
	v_add_f32_e32 v98, v24, v98                                // 000000006D84: 02C4C518
	v_add_f32_e32 v98, v25, v98                                // 000000006D88: 02C4C519
	v_add_f32_e32 v98, v26, v98                                // 000000006D8C: 02C4C51A
	v_add_f32_e32 v98, v27, v98                                // 000000006D90: 02C4C51B
	v_add_f32_e32 v98, v28, v98                                // 000000006D94: 02C4C51C
	v_add_f32_e32 v98, v29, v98                                // 000000006D98: 02C4C51D
	v_add_f32_e32 v98, v30, v98                                // 000000006D9C: 02C4C51E
	v_add_f32_e32 v98, v31, v98                                // 000000006DA0: 02C4C51F
	buffer_load_dwordx4 a[68:71], v113, s[16:19], 0 offen      // 000000006DA4: E05C1000 80844471
	ds_read_b32 v76, v129 offset:1280                          // 000000006DAC: D86C0500 4C000081
	ds_read_b32 v77, v129 offset:1344                          // 000000006DB4: D86C0540 4D000081
	ds_read_b32 v78, v129 offset:1408                          // 000000006DBC: D86C0580 4E000081
	ds_read_b32 v79, v129 offset:1472                          // 000000006DC4: D86C05C0 4F000081
	ds_read_b32 v80, v129 offset:1536                          // 000000006DCC: D86C0600 50000081
	ds_read_b32 v81, v129 offset:1600                          // 000000006DD4: D86C0640 51000081
	ds_read_b32 v82, v129 offset:1664                          // 000000006DDC: D86C0680 52000081
	ds_read_b32 v83, v129 offset:1728                          // 000000006DE4: D86C06C0 53000081
	ds_read_b32 v84, v129 offset:1792                          // 000000006DEC: D86C0700 54000081
	ds_read_b32 v85, v129 offset:1856                          // 000000006DF4: D86C0740 55000081
	ds_read_b32 v86, v129 offset:1920                          // 000000006DFC: D86C0780 56000081
	ds_read_b32 v87, v129 offset:1984                          // 000000006E04: D86C07C0 57000081
	ds_read_b32 v88, v129 offset:2048                          // 000000006E0C: D86C0800 58000081
	ds_read_b32 v89, v129 offset:2112                          // 000000006E14: D86C0840 59000081
	ds_read_b32 v90, v129 offset:2176                          // 000000006E1C: D86C0880 5A000081
	ds_read_b32 v91, v129 offset:2240                          // 000000006E24: D86C08C0 5B000081
	buffer_load_dwordx4 a[64:67], v112, s[16:19], 0 offen      // 000000006E2C: E05C1000 80844070
	s_waitcnt lgkmcnt(0)                                       // 000000006E34: BF8CC07F
	v_max3_f32 v92, v76, v77, v92                              // 000000006E38: D1D3005C 05729B4C
	v_max3_f32 v92, v78, v79, v92                              // 000000006E40: D1D3005C 05729F4E
	v_max3_f32 v92, v80, v81, v92                              // 000000006E48: D1D3005C 0572A350
	v_max3_f32 v92, v82, v83, v92                              // 000000006E50: D1D3005C 0572A752
	v_max3_f32 v92, v84, v85, v92                              // 000000006E58: D1D3005C 0572AB54
	v_max3_f32 v92, v86, v87, v92                              // 000000006E60: D1D3005C 0572AF56
	v_max3_f32 v92, v88, v89, v92                              // 000000006E68: D1D3005C 0572B358
	v_max3_f32 v92, v90, v91, v92                              // 000000006E70: D1D3005C 0572B75A
	v_rcp_f32_e32 v92, v92                                     // 000000006E78: 7EB8455C
	s_nop 0                                                    // 000000006E7C: BF800000
	v_mul_f32_e32 v92, 0x43700000, v92                         // 000000006E80: 0AB8B8FF 43700000
	v_mov_b32_e32 v93, v92                                     // 000000006E88: 7EBA035C
	v_pk_mul_f32 v[16:17], v[92:93], v[32:33]                  // 000000006E8C: D3B14010 1802415C
	v_pk_mul_f32 v[18:19], v[92:93], v[34:35]                  // 000000006E94: D3B14012 1802455C
	v_pk_mul_f32 v[20:21], v[92:93], v[36:37]                  // 000000006E9C: D3B14014 1802495C
	v_pk_mul_f32 v[22:23], v[92:93], v[38:39]                  // 000000006EA4: D3B14016 18024D5C
	v_pk_mul_f32 v[24:25], v[92:93], v[40:41]                  // 000000006EAC: D3B14018 1802515C
	v_pk_mul_f32 v[26:27], v[92:93], v[42:43]                  // 000000006EB4: D3B1401A 1802555C
	v_pk_mul_f32 v[28:29], v[92:93], v[44:45]                  // 000000006EBC: D3B1401C 1802595C
	v_pk_mul_f32 v[30:31], v[92:93], v[46:47]                  // 000000006EC4: D3B1401E 18025D5C
	v_cvt_pk_fp8_f32 v16, v16, v17                             // 000000006ECC: D2A20010 00022310
	v_cvt_pk_fp8_f32 v16, v18, v19 op_sel:[0,0,1]              // 000000006ED4: D2A24010 00022712
	v_cvt_pk_fp8_f32 v17, v20, v21                             // 000000006EDC: D2A20011 00022B14
	v_cvt_pk_fp8_f32 v17, v22, v23 op_sel:[0,0,1]              // 000000006EE4: D2A24011 00022F16
	v_cvt_pk_fp8_f32 v18, v24, v25                             // 000000006EEC: D2A20012 00023318
	v_cvt_pk_fp8_f32 v18, v26, v27 op_sel:[0,0,1]              // 000000006EF4: D2A24012 0002371A
	v_cvt_pk_fp8_f32 v19, v28, v29                             // 000000006EFC: D2A20013 00023B1C
	v_cvt_pk_fp8_f32 v19, v30, v31 op_sel:[0,0,1]              // 000000006F04: D2A24013 00023F1E
	ds_write_b32 v130, v16 offset:2560                         // 000000006F0C: D81A0A00 00001082
	ds_write_b32 v130, v17 offset:3584                         // 000000006F14: D81A0E00 00001182
	ds_write_b32 v130, v18 offset:4608                         // 000000006F1C: D81A1200 00001282
	ds_write_b32 v130, v19 offset:5632                         // 000000006F24: D81A1600 00001382
	v_rcp_f32_e32 v70, v92                                     // 000000006F2C: 7E8C455C
	s_nop 0                                                    // 000000006F30: BF800000
	v_mov_b32_e32 v71, v70                                     // 000000006F34: 7E8E0346
	buffer_load_dwordx4 a[72:75], v114, s[16:19], 0 offen      // 000000006F38: E05C1000 80844872
	v_pk_add_f32 v[56:57], v[56:57], v[48:49]                  // 000000006F40: D3B24038 18026138
	v_pk_add_f32 v[58:59], v[58:59], v[50:51]                  // 000000006F48: D3B2403A 1802653A
	v_pk_add_f32 v[60:61], v[60:61], v[52:53]                  // 000000006F50: D3B2403C 1802693C
	v_pk_add_f32 v[62:63], v[62:63], v[54:55]                  // 000000006F58: D3B2403E 18026D3E
	s_waitcnt lgkmcnt(0)                                       // 000000006F60: BF8CC07F
	s_barrier                                                  // 000000006F64: BF8A0000
	ds_read_b128 v[16:19], v131 offset:2560                    // 000000006F68: D9FE0A00 10000083
	ds_read_b128 v[20:23], v131 offset:3584                    // 000000006F70: D9FE0E00 14000083
	ds_read_b128 v[24:27], v131 offset:4608                    // 000000006F78: D9FE1200 18000083
	ds_read_b128 v[28:31], v131 offset:5632                    // 000000006F80: D9FE1600 1C000083
	buffer_load_dwordx4 a[76:79], v115, s[16:19], 0 offen      // 000000006F88: E05C1000 80844C73
	s_waitcnt vmcnt(14)                                        // 000000006F90: BF8C0F7E
	s_waitcnt lgkmcnt(3)                                       // 000000006F94: BF8CC37F
	v_mfma_f32_16x16x32_fp8_fp8 v[48:51], a[96:97], v[16:17], 0// 000000006F98: D3F30030 0A022160
	v_mfma_f32_16x16x32_fp8_fp8 v[52:55], a[112:113], v[16:17], 0// 000000006FA0: D3F30034 0A022170
	v_mfma_f32_16x16x32_fp8_fp8 v[48:51], a[98:99], v[18:19], v[48:51]// 000000006FA8: D3F30030 0CC22562
	buffer_load_dwordx4 a[80:83], v112, s[16:19], 0 offen offset:1024// 000000006FB0: E05C1400 80845070
	v_mfma_f32_16x16x32_fp8_fp8 v[52:55], a[114:115], v[18:19], v[52:55]// 000000006FB8: D3F30034 0CD22572
	s_waitcnt lgkmcnt(2)                                       // 000000006FC0: BF8CC27F
	v_mfma_f32_16x16x32_fp8_fp8 v[48:51], a[100:101], v[20:21], v[48:51]// 000000006FC4: D3F30030 0CC22964
	v_mfma_f32_16x16x32_fp8_fp8 v[52:55], a[116:117], v[20:21], v[52:55]// 000000006FCC: D3F30034 0CD22974
	v_mfma_f32_16x16x32_fp8_fp8 v[48:51], a[102:103], v[22:23], v[48:51]// 000000006FD4: D3F30030 0CC22D66
	buffer_load_dwordx4 a[84:87], v113, s[16:19], 0 offen offset:1024// 000000006FDC: E05C1400 80845471
	v_mfma_f32_16x16x32_fp8_fp8 v[52:55], a[118:119], v[22:23], v[52:55]// 000000006FE4: D3F30034 0CD22D76
	s_waitcnt lgkmcnt(1)                                       // 000000006FEC: BF8CC17F
	v_mfma_f32_16x16x32_fp8_fp8 v[48:51], a[104:105], v[24:25], v[48:51]// 000000006FF0: D3F30030 0CC23168
	v_mfma_f32_16x16x32_fp8_fp8 v[52:55], a[120:121], v[24:25], v[52:55]// 000000006FF8: D3F30034 0CD23178
	v_mfma_f32_16x16x32_fp8_fp8 v[48:51], a[106:107], v[26:27], v[48:51]// 000000007000: D3F30030 0CC2356A
	buffer_load_dwordx4 a[88:91], v114, s[16:19], 0 offen offset:1024// 000000007008: E05C1400 80845872
	v_mfma_f32_16x16x32_fp8_fp8 v[52:55], a[122:123], v[26:27], v[52:55]// 000000007010: D3F30034 0CD2357A
	s_waitcnt lgkmcnt(0)                                       // 000000007018: BF8CC07F
	v_mfma_f32_16x16x32_fp8_fp8 v[48:51], a[108:109], v[28:29], v[48:51]// 00000000701C: D3F30030 0CC2396C
	v_mfma_f32_16x16x32_fp8_fp8 v[52:55], a[124:125], v[28:29], v[52:55]// 000000007024: D3F30034 0CD2397C
	v_mfma_f32_16x16x32_fp8_fp8 v[48:51], a[110:111], v[30:31], v[48:51]// 00000000702C: D3F30030 0CC23D6E
	buffer_load_dwordx4 a[92:95], v115, s[16:19], 0 offen offset:1024// 000000007034: E05C1400 80845C73
	v_mfma_f32_16x16x32_fp8_fp8 v[52:55], a[126:127], v[30:31], v[52:55]// 00000000703C: D3F30034 0CD23D7E
	s_addk_i32 s64, 0x100                                      // 000000007044: B7400100
	s_branch label_0A5F                                        // 000000007048: BF82F84C

000000000000704c <label_1213>:
	s_cmp_lt_i32 s64, s62                                      // 00000000704C: BF043E40
	s_cbranch_scc0 label_21EB                                  // 000000007050: BF840FD6
	s_waitcnt vmcnt(10)                                        // 000000007054: BF8C0F7A
	v_mfma_f32_16x16x32_fp8_fp8 v[16:19], a[0:1], v[8:9], 0    // 000000007058: D3F30010 0A021100
	s_add_u32 s12, s86, s69                                    // 000000007060: 800C4556
	s_addc_u32 s13, s87, 0                                     // 000000007064: 820D8057
	v_mfma_f32_16x16x32_fp8_fp8 v[16:19], a[2:3], v[10:11], v[16:19]// 000000007068: D3F30010 0C421502
	s_add_u32 s16, s88, s70                                    // 000000007070: 80104658
	s_addc_u32 s17, s89, 0                                     // 000000007074: 82118059
	v_mfma_f32_16x16x32_fp8_fp8 v[16:19], a[4:5], v[12:13], v[16:19]// 000000007078: D3F30010 0C421904
	buffer_load_dwordx4 a[32:35], v110, s[12:15], 0 offen      // 000000007080: E05C1000 8083206E
	v_mfma_f32_16x16x32_fp8_fp8 v[16:19], a[6:7], v[14:15], v[16:19]// 000000007088: D3F30010 0C421D06
	s_add_u32 s20, s90, s71                                    // 000000007090: 8014475A
	s_addc_u32 s21, s91, 0                                     // 000000007094: 8215805B
	v_mfma_f32_16x16x32_fp8_fp8 v[20:23], a[8:9], v[8:9], 0    // 000000007098: D3F30014 0A021108
	s_add_u32 s24, s92, s71                                    // 0000000070A0: 8018475C
	s_addc_u32 s25, s93, 0                                     // 0000000070A4: 8219805D
	v_mfma_f32_16x16x32_fp8_fp8 v[20:23], a[10:11], v[10:11], v[20:23]// 0000000070A8: D3F30014 0C52150A
	s_add_u32 s69, s69, 0x1000                                 // 0000000070B0: 8045FF45 00001000
	s_add_u32 s70, s70, 0x8000                                 // 0000000070B8: 8046FF46 00008000
	v_mfma_f32_16x16x32_fp8_fp8 v[20:23], a[12:13], v[12:13], v[20:23]// 0000000070C0: D3F30014 0C52190C
	buffer_load_dwordx4 a[36:39], v111, s[12:15], 0 offen      // 0000000070C8: E05C1000 8083246F
	v_mfma_f32_16x16x32_fp8_fp8 v[20:23], a[14:15], v[14:15], v[20:23]// 0000000070D0: D3F30014 0C521D0E
	s_add_u32 s71, s71, 0x400                                  // 0000000070D8: 8047FF47 00000400
	v_mfma_f32_16x16x32_fp8_fp8 v[24:27], a[16:17], v[8:9], 0  // 0000000070E0: D3F30018 0A021110
	v_mfma_f32_16x16x32_fp8_fp8 v[24:27], a[18:19], v[10:11], v[24:27]// 0000000070E8: D3F30018 0C621512
	v_mfma_f32_16x16x32_fp8_fp8 v[24:27], a[20:21], v[12:13], v[24:27]// 0000000070F0: D3F30018 0C621914
	buffer_load_dwordx4 a[40:43], v110, s[12:15], 0 offen offset:1024// 0000000070F8: E05C1400 8083286E
	v_mfma_f32_16x16x32_fp8_fp8 v[24:27], a[22:23], v[14:15], v[24:27]// 000000007100: D3F30018 0C621D16
	v_mfma_f32_16x16x32_fp8_fp8 v[28:31], a[24:25], v[8:9], 0  // 000000007108: D3F3001C 0A021118
	v_mfma_f32_16x16x32_fp8_fp8 v[28:31], a[26:27], v[10:11], v[28:31]// 000000007110: D3F3001C 0C72151A
	v_mfma_f32_16x16x32_fp8_fp8 v[28:31], a[28:29], v[12:13], v[28:31]// 000000007118: D3F3001C 0C72191C
	buffer_load_dwordx4 a[44:47], v111, s[12:15], 0 offen offset:1024// 000000007120: E05C1400 80832C6F
	v_mfma_f32_16x16x32_fp8_fp8 v[28:31], a[30:31], v[14:15], v[28:31]// 000000007128: D3F3001C 0C721D1E
	s_waitcnt vmcnt(12)                                        // 000000007130: BF8C0F7C
	v_pk_mul_f32 v[16:17], v[64:65], v[16:17]                  // 000000007134: D3B14010 18022140
	v_pk_mul_f32 v[18:19], v[64:65], v[18:19]                  // 00000000713C: D3B14012 18022540
	v_mul_f32_dpp v16, v66, v16 row_newbcast:0 row_mask:0xf bank_mask:0xf// 000000007144: 0A2020FA FF015042
	v_mul_f32_dpp v17, v66, v17 row_newbcast:1 row_mask:0xf bank_mask:0xf// 00000000714C: 0A2222FA FF015142
	v_mul_f32_dpp v18, v66, v18 row_newbcast:2 row_mask:0xf bank_mask:0xf// 000000007154: 0A2424FA FF015242
	v_mul_f32_dpp v19, v66, v19 row_newbcast:3 row_mask:0xf bank_mask:0xf// 00000000715C: 0A2626FA FF015342
	v_pk_mul_f32 v[20:21], v[64:65], v[20:21]                  // 000000007164: D3B14014 18022940
	v_pk_mul_f32 v[22:23], v[64:65], v[22:23]                  // 00000000716C: D3B14016 18022D40
	v_mul_f32_dpp v20, v66, v20 row_newbcast:4 row_mask:0xf bank_mask:0xf// 000000007174: 0A2828FA FF015442
	v_mul_f32_dpp v21, v66, v21 row_newbcast:5 row_mask:0xf bank_mask:0xf// 00000000717C: 0A2A2AFA FF015542
	v_mul_f32_dpp v22, v66, v22 row_newbcast:6 row_mask:0xf bank_mask:0xf// 000000007184: 0A2C2CFA FF015642
	v_mul_f32_dpp v23, v66, v23 row_newbcast:7 row_mask:0xf bank_mask:0xf// 00000000718C: 0A2E2EFA FF015742
	v_pk_mul_f32 v[24:25], v[64:65], v[24:25]                  // 000000007194: D3B14018 18023140
	v_pk_mul_f32 v[26:27], v[64:65], v[26:27]                  // 00000000719C: D3B1401A 18023540
	v_mul_f32_dpp v24, v66, v24 row_newbcast:8 row_mask:0xf bank_mask:0xf// 0000000071A4: 0A3030FA FF015842
	v_mul_f32_dpp v25, v66, v25 row_newbcast:9 row_mask:0xf bank_mask:0xf// 0000000071AC: 0A3232FA FF015942
	v_mul_f32_dpp v26, v66, v26 row_newbcast:10 row_mask:0xf bank_mask:0xf// 0000000071B4: 0A3434FA FF015A42
	v_mul_f32_dpp v27, v66, v27 row_newbcast:11 row_mask:0xf bank_mask:0xf// 0000000071BC: 0A3636FA FF015B42
	v_pk_mul_f32 v[28:29], v[64:65], v[28:29]                  // 0000000071C4: D3B1401C 18023940
	v_pk_mul_f32 v[30:31], v[64:65], v[30:31]                  // 0000000071CC: D3B1401E 18023D40
	v_mul_f32_dpp v28, v66, v28 row_newbcast:12 row_mask:0xf bank_mask:0xf// 0000000071D4: 0A3838FA FF015C42
	v_mul_f32_dpp v29, v66, v29 row_newbcast:13 row_mask:0xf bank_mask:0xf// 0000000071DC: 0A3A3AFA FF015D42
	v_mul_f32_dpp v30, v66, v30 row_newbcast:14 row_mask:0xf bank_mask:0xf// 0000000071E4: 0A3C3CFA FF015E42
	v_mul_f32_dpp v31, v66, v31 row_newbcast:15 row_mask:0xf bank_mask:0xf// 0000000071EC: 0A3E3EFA FF015F42
	buffer_load_dwordx4 a[48:51], v110, s[12:15], 0 offen offset:2048// 0000000071F4: E05C1800 8083306E
	v_add_u32_e32 v72, s64, v106                               // 0000000071FC: 6890D440
	v_add_u32_e32 v73, 0, v72                                  // 000000007200: 68929080
	v_cmp_lt_u32_e64 s[98:99], v73, v105                       // 000000007204: D0C90062 0002D349
	s_nop 0                                                    // 00000000720C: BF800000
	v_cndmask_b32_e64 v16, v107, v16, s[98:99]                 // 000000007210: D1000010 018A216B
	v_add_u32_e32 v73, 1, v72                                  // 000000007218: 68929081
	v_cmp_lt_u32_e64 s[98:99], v73, v105                       // 00000000721C: D0C90062 0002D349
	s_nop 0                                                    // 000000007224: BF800000
	v_cndmask_b32_e64 v17, v107, v17, s[98:99]                 // 000000007228: D1000011 018A236B
	v_add_u32_e32 v73, 2, v72                                  // 000000007230: 68929082
	v_cmp_lt_u32_e64 s[98:99], v73, v105                       // 000000007234: D0C90062 0002D349
	s_nop 0                                                    // 00000000723C: BF800000
	v_cndmask_b32_e64 v18, v107, v18, s[98:99]                 // 000000007240: D1000012 018A256B
	v_add_u32_e32 v73, 3, v72                                  // 000000007248: 68929083
	v_cmp_lt_u32_e64 s[98:99], v73, v105                       // 00000000724C: D0C90062 0002D349
	s_nop 0                                                    // 000000007254: BF800000
	v_cndmask_b32_e64 v19, v107, v19, s[98:99]                 // 000000007258: D1000013 018A276B
	v_add_u32_e32 v73, 64, v72                                 // 000000007260: 689290C0
	v_cmp_lt_u32_e64 s[98:99], v73, v105                       // 000000007264: D0C90062 0002D349
	s_nop 0                                                    // 00000000726C: BF800000
	v_cndmask_b32_e64 v20, v107, v20, s[98:99]                 // 000000007270: D1000014 018A296B
	v_add_u32_e32 v73, 0x41, v72                               // 000000007278: 689290FF 00000041
	v_cmp_lt_u32_e64 s[98:99], v73, v105                       // 000000007280: D0C90062 0002D349
	s_nop 0                                                    // 000000007288: BF800000
	v_cndmask_b32_e64 v21, v107, v21, s[98:99]                 // 00000000728C: D1000015 018A2B6B
	v_add_u32_e32 v73, 0x42, v72                               // 000000007294: 689290FF 00000042
	v_cmp_lt_u32_e64 s[98:99], v73, v105                       // 00000000729C: D0C90062 0002D349
	s_nop 0                                                    // 0000000072A4: BF800000
	v_cndmask_b32_e64 v22, v107, v22, s[98:99]                 // 0000000072A8: D1000016 018A2D6B
	v_add_u32_e32 v73, 0x43, v72                               // 0000000072B0: 689290FF 00000043
	v_cmp_lt_u32_e64 s[98:99], v73, v105                       // 0000000072B8: D0C90062 0002D349
	s_nop 0                                                    // 0000000072C0: BF800000
	v_cndmask_b32_e64 v23, v107, v23, s[98:99]                 // 0000000072C4: D1000017 018A2F6B
	v_add_u32_e32 v73, 0x80, v72                               // 0000000072CC: 689290FF 00000080
	v_cmp_lt_u32_e64 s[98:99], v73, v105                       // 0000000072D4: D0C90062 0002D349
	s_nop 0                                                    // 0000000072DC: BF800000
	v_cndmask_b32_e64 v24, v107, v24, s[98:99]                 // 0000000072E0: D1000018 018A316B
	v_add_u32_e32 v73, 0x81, v72                               // 0000000072E8: 689290FF 00000081
	v_cmp_lt_u32_e64 s[98:99], v73, v105                       // 0000000072F0: D0C90062 0002D349
	s_nop 0                                                    // 0000000072F8: BF800000
	v_cndmask_b32_e64 v25, v107, v25, s[98:99]                 // 0000000072FC: D1000019 018A336B
	v_add_u32_e32 v73, 0x82, v72                               // 000000007304: 689290FF 00000082
	v_cmp_lt_u32_e64 s[98:99], v73, v105                       // 00000000730C: D0C90062 0002D349
	s_nop 0                                                    // 000000007314: BF800000
	v_cndmask_b32_e64 v26, v107, v26, s[98:99]                 // 000000007318: D100001A 018A356B
	v_add_u32_e32 v73, 0x83, v72                               // 000000007320: 689290FF 00000083
	v_cmp_lt_u32_e64 s[98:99], v73, v105                       // 000000007328: D0C90062 0002D349
	s_nop 0                                                    // 000000007330: BF800000
	v_cndmask_b32_e64 v27, v107, v27, s[98:99]                 // 000000007334: D100001B 018A376B
	v_add_u32_e32 v73, 0xc0, v72                               // 00000000733C: 689290FF 000000C0
	v_cmp_lt_u32_e64 s[98:99], v73, v105                       // 000000007344: D0C90062 0002D349
	s_nop 0                                                    // 00000000734C: BF800000
	v_cndmask_b32_e64 v28, v107, v28, s[98:99]                 // 000000007350: D100001C 018A396B
	v_add_u32_e32 v73, 0xc1, v72                               // 000000007358: 689290FF 000000C1
	v_cmp_lt_u32_e64 s[98:99], v73, v105                       // 000000007360: D0C90062 0002D349
	s_nop 0                                                    // 000000007368: BF800000
	v_cndmask_b32_e64 v29, v107, v29, s[98:99]                 // 00000000736C: D100001D 018A3B6B
	v_add_u32_e32 v73, 0xc2, v72                               // 000000007374: 689290FF 000000C2
	v_cmp_lt_u32_e64 s[98:99], v73, v105                       // 00000000737C: D0C90062 0002D349
	s_nop 0                                                    // 000000007384: BF800000
	v_cndmask_b32_e64 v30, v107, v30, s[98:99]                 // 000000007388: D100001E 018A3D6B
	v_add_u32_e32 v73, 0xc3, v72                               // 000000007390: 689290FF 000000C3
	v_cmp_lt_u32_e64 s[98:99], v73, v105                       // 000000007398: D0C90062 0002D349
	s_nop 0                                                    // 0000000073A0: BF800000
	v_cndmask_b32_e64 v31, v107, v31, s[98:99]                 // 0000000073A4: D100001F 018A3F6B
	v_mov_b32_e32 v92, v16                                     // 0000000073AC: 7EB80310
	v_max3_f32 v92, v16, v17, v92                              // 0000000073B0: D1D3005C 05722310
	v_max3_f32 v92, v18, v19, v92                              // 0000000073B8: D1D3005C 05722712
	v_max3_f32 v92, v20, v21, v92                              // 0000000073C0: D1D3005C 05722B14
	v_max3_f32 v92, v22, v23, v92                              // 0000000073C8: D1D3005C 05722F16
	v_max3_f32 v92, v24, v25, v92                              // 0000000073D0: D1D3005C 05723318
	v_max3_f32 v92, v26, v27, v92                              // 0000000073D8: D1D3005C 0572371A
	v_max3_f32 v92, v28, v29, v92                              // 0000000073E0: D1D3005C 05723B1C
	v_max3_f32 v92, v30, v31, v92                              // 0000000073E8: D1D3005C 05723F1E
	ds_write_b32 v128, v92                                     // 0000000073F0: D81A0000 00005C80
	v_pk_mul_f32 v[56:57], v[94:95], v[56:57]                  // 0000000073F8: D3B14038 1802715E
	v_pk_mul_f32 v[58:59], v[94:95], v[58:59]                  // 000000007400: D3B1403A 1802755E
	v_pk_mul_f32 v[60:61], v[94:95], v[60:61]                  // 000000007408: D3B1403C 1802795E
	v_pk_mul_f32 v[62:63], v[94:95], v[62:63]                  // 000000007410: D3B1403E 18027D5E
	buffer_load_dwordx4 a[52:55], v111, s[12:15], 0 offen offset:2048// 000000007418: E05C1800 8083346F
	s_waitcnt lgkmcnt(0)                                       // 000000007420: BF8CC07F
	s_barrier                                                  // 000000007424: BF8A0000
	ds_read_b32 v76, v129                                      // 000000007428: D86C0000 4C000081
	ds_read_b32 v77, v129 offset:64                            // 000000007430: D86C0040 4D000081
	ds_read_b32 v78, v129 offset:128                           // 000000007438: D86C0080 4E000081
	ds_read_b32 v79, v129 offset:192                           // 000000007440: D86C00C0 4F000081
	ds_read_b32 v80, v129 offset:256                           // 000000007448: D86C0100 50000081
	ds_read_b32 v81, v129 offset:320                           // 000000007450: D86C0140 51000081
	ds_read_b32 v82, v129 offset:384                           // 000000007458: D86C0180 52000081
	ds_read_b32 v83, v129 offset:448                           // 000000007460: D86C01C0 53000081
	ds_read_b32 v84, v129 offset:512                           // 000000007468: D86C0200 54000081
	ds_read_b32 v85, v129 offset:576                           // 000000007470: D86C0240 55000081
	ds_read_b32 v86, v129 offset:640                           // 000000007478: D86C0280 56000081
	ds_read_b32 v87, v129 offset:704                           // 000000007480: D86C02C0 57000081
	ds_read_b32 v88, v129 offset:768                           // 000000007488: D86C0300 58000081
	ds_read_b32 v89, v129 offset:832                           // 000000007490: D86C0340 59000081
	ds_read_b32 v90, v129 offset:896                           // 000000007498: D86C0380 5A000081
	ds_read_b32 v91, v129 offset:960                           // 0000000074A0: D86C03C0 5B000081
	buffer_load_dwordx4 a[60:63], v111, s[12:15], 0 offen offset:3072// 0000000074A8: E05C1C00 80833C6F
	v_pk_mul_f32 v[48:49], v[70:71], v[48:49]                  // 0000000074B0: D3B14030 18026146
	v_pk_mul_f32 v[50:51], v[70:71], v[50:51]                  // 0000000074B8: D3B14032 18026546
	v_pk_mul_f32 v[52:53], v[70:71], v[52:53]                  // 0000000074C0: D3B14034 18026946
	v_pk_mul_f32 v[54:55], v[70:71], v[54:55]                  // 0000000074C8: D3B14036 18026D46
	buffer_load_dwordx4 a[56:59], v110, s[12:15], 0 offen offset:3072// 0000000074D0: E05C1C00 8083386E
	s_waitcnt lgkmcnt(0)                                       // 0000000074D8: BF8CC07F
	v_max3_f32 v92, v76, v77, v92                              // 0000000074DC: D1D3005C 05729B4C
	v_max3_f32 v92, v78, v79, v92                              // 0000000074E4: D1D3005C 05729F4E
	v_max3_f32 v92, v80, v81, v92                              // 0000000074EC: D1D3005C 0572A350
	v_max3_f32 v92, v82, v83, v92                              // 0000000074F4: D1D3005C 0572A752
	v_max3_f32 v92, v84, v85, v92                              // 0000000074FC: D1D3005C 0572AB54
	v_max3_f32 v92, v86, v87, v92                              // 000000007504: D1D3005C 0572AF56
	v_max3_f32 v92, v88, v89, v92                              // 00000000750C: D1D3005C 0572B358
	v_max3_f32 v92, v90, v91, v92                              // 000000007514: D1D3005C 0572B75A
	v_max_f32_e32 v97, v92, v96                                // 00000000751C: 16C2C15C
	v_mul_f32_e64 v72, -s46, v97                               // 000000007520: D1050048 2002C22E
	v_mov_b32_e32 v73, v72                                     // 000000007528: 7E920348
	v_pk_fma_f32 v[16:17], v[16:17], s[46:47], v[72:73]        // 00000000752C: D3B04010 1D205D10
	v_pk_fma_f32 v[18:19], v[18:19], s[46:47], v[72:73]        // 000000007534: D3B04012 1D205D12
	v_exp_f32_e32 v16, v16                                     // 00000000753C: 7E204110
	v_exp_f32_e32 v17, v17                                     // 000000007540: 7E224111
	v_exp_f32_e32 v18, v18                                     // 000000007544: 7E244112
	v_exp_f32_e32 v19, v19                                     // 000000007548: 7E264113
	v_pk_fma_f32 v[20:21], v[20:21], s[46:47], v[72:73]        // 00000000754C: D3B04014 1D205D14
	v_pk_fma_f32 v[22:23], v[22:23], s[46:47], v[72:73]        // 000000007554: D3B04016 1D205D16
	v_exp_f32_e32 v20, v20                                     // 00000000755C: 7E284114
	v_exp_f32_e32 v21, v21                                     // 000000007560: 7E2A4115
	v_exp_f32_e32 v22, v22                                     // 000000007564: 7E2C4116
	v_exp_f32_e32 v23, v23                                     // 000000007568: 7E2E4117
	v_pk_fma_f32 v[24:25], v[24:25], s[46:47], v[72:73]        // 00000000756C: D3B04018 1D205D18
	v_pk_fma_f32 v[26:27], v[26:27], s[46:47], v[72:73]        // 000000007574: D3B0401A 1D205D1A
	v_exp_f32_e32 v24, v24                                     // 00000000757C: 7E304118
	v_exp_f32_e32 v25, v25                                     // 000000007580: 7E324119
	v_exp_f32_e32 v26, v26                                     // 000000007584: 7E34411A
	v_exp_f32_e32 v27, v27                                     // 000000007588: 7E36411B
	v_pk_fma_f32 v[28:29], v[28:29], s[46:47], v[72:73]        // 00000000758C: D3B0401C 1D205D1C
	v_pk_fma_f32 v[30:31], v[30:31], s[46:47], v[72:73]        // 000000007594: D3B0401E 1D205D1E
	v_exp_f32_e32 v28, v28                                     // 00000000759C: 7E38411C
	v_exp_f32_e32 v29, v29                                     // 0000000075A0: 7E3A411D
	v_exp_f32_e32 v30, v30                                     // 0000000075A4: 7E3C411E
	v_exp_f32_e32 v31, v31                                     // 0000000075A8: 7E3E411F
	v_mul_f32_dpp v32, v68, v16 row_newbcast:0 row_mask:0xf bank_mask:0xf// 0000000075AC: 0A4020FA FF015044
	v_mul_f32_dpp v33, v68, v17 row_newbcast:1 row_mask:0xf bank_mask:0xf// 0000000075B4: 0A4222FA FF015144
	v_mul_f32_dpp v34, v68, v18 row_newbcast:2 row_mask:0xf bank_mask:0xf// 0000000075BC: 0A4424FA FF015244
	v_mul_f32_dpp v35, v68, v19 row_newbcast:3 row_mask:0xf bank_mask:0xf// 0000000075C4: 0A4626FA FF015344
	v_mul_f32_dpp v36, v68, v20 row_newbcast:4 row_mask:0xf bank_mask:0xf// 0000000075CC: 0A4828FA FF015444
	v_mul_f32_dpp v37, v68, v21 row_newbcast:5 row_mask:0xf bank_mask:0xf// 0000000075D4: 0A4A2AFA FF015544
	v_mul_f32_dpp v38, v68, v22 row_newbcast:6 row_mask:0xf bank_mask:0xf// 0000000075DC: 0A4C2CFA FF015644
	v_mul_f32_dpp v39, v68, v23 row_newbcast:7 row_mask:0xf bank_mask:0xf// 0000000075E4: 0A4E2EFA FF015744
	v_mul_f32_dpp v40, v68, v24 row_newbcast:8 row_mask:0xf bank_mask:0xf// 0000000075EC: 0A5030FA FF015844
	v_mul_f32_dpp v41, v68, v25 row_newbcast:9 row_mask:0xf bank_mask:0xf// 0000000075F4: 0A5232FA FF015944
	v_mul_f32_dpp v42, v68, v26 row_newbcast:10 row_mask:0xf bank_mask:0xf// 0000000075FC: 0A5434FA FF015A44
	v_mul_f32_dpp v43, v68, v27 row_newbcast:11 row_mask:0xf bank_mask:0xf// 000000007604: 0A5636FA FF015B44
	v_mul_f32_dpp v44, v68, v28 row_newbcast:12 row_mask:0xf bank_mask:0xf// 00000000760C: 0A5838FA FF015C44
	v_mul_f32_dpp v45, v68, v29 row_newbcast:13 row_mask:0xf bank_mask:0xf// 000000007614: 0A5A3AFA FF015D44
	v_mul_f32_dpp v46, v68, v30 row_newbcast:14 row_mask:0xf bank_mask:0xf// 00000000761C: 0A5C3CFA FF015E44
	v_mul_f32_dpp v47, v68, v31 row_newbcast:15 row_mask:0xf bank_mask:0xf// 000000007624: 0A5E3EFA FF015F44
	v_add_u32_e32 v72, s64, v106                               // 00000000762C: 6890D440
	v_add_u32_e32 v73, 0, v72                                  // 000000007630: 68929080
	v_cmp_lt_u32_e32 vcc, v73, v105                            // 000000007634: 7D92D349
	v_cndmask_b32_e32 v32, 0, v32, vcc                         // 000000007638: 00404080
	v_add_u32_e32 v73, 1, v72                                  // 00000000763C: 68929081
	v_cmp_lt_u32_e32 vcc, v73, v105                            // 000000007640: 7D92D349
	v_cndmask_b32_e32 v33, 0, v33, vcc                         // 000000007644: 00424280
	v_add_u32_e32 v73, 2, v72                                  // 000000007648: 68929082
	v_cmp_lt_u32_e32 vcc, v73, v105                            // 00000000764C: 7D92D349
	v_cndmask_b32_e32 v34, 0, v34, vcc                         // 000000007650: 00444480
	v_add_u32_e32 v73, 3, v72                                  // 000000007654: 68929083
	v_cmp_lt_u32_e32 vcc, v73, v105                            // 000000007658: 7D92D349
	v_cndmask_b32_e32 v35, 0, v35, vcc                         // 00000000765C: 00464680
	v_add_u32_e32 v73, 64, v72                                 // 000000007660: 689290C0
	v_cmp_lt_u32_e32 vcc, v73, v105                            // 000000007664: 7D92D349
	v_cndmask_b32_e32 v36, 0, v36, vcc                         // 000000007668: 00484880
	v_add_u32_e32 v73, 0x41, v72                               // 00000000766C: 689290FF 00000041
	v_cmp_lt_u32_e32 vcc, v73, v105                            // 000000007674: 7D92D349
	v_cndmask_b32_e32 v37, 0, v37, vcc                         // 000000007678: 004A4A80
	v_add_u32_e32 v73, 0x42, v72                               // 00000000767C: 689290FF 00000042
	v_cmp_lt_u32_e32 vcc, v73, v105                            // 000000007684: 7D92D349
	v_cndmask_b32_e32 v38, 0, v38, vcc                         // 000000007688: 004C4C80
	v_add_u32_e32 v73, 0x43, v72                               // 00000000768C: 689290FF 00000043
	v_cmp_lt_u32_e32 vcc, v73, v105                            // 000000007694: 7D92D349
	v_cndmask_b32_e32 v39, 0, v39, vcc                         // 000000007698: 004E4E80
	v_add_u32_e32 v73, 0x80, v72                               // 00000000769C: 689290FF 00000080
	v_cmp_lt_u32_e32 vcc, v73, v105                            // 0000000076A4: 7D92D349
	v_cndmask_b32_e32 v40, 0, v40, vcc                         // 0000000076A8: 00505080
	v_add_u32_e32 v73, 0x81, v72                               // 0000000076AC: 689290FF 00000081
	v_cmp_lt_u32_e32 vcc, v73, v105                            // 0000000076B4: 7D92D349
	v_cndmask_b32_e32 v41, 0, v41, vcc                         // 0000000076B8: 00525280
	v_add_u32_e32 v73, 0x82, v72                               // 0000000076BC: 689290FF 00000082
	v_cmp_lt_u32_e32 vcc, v73, v105                            // 0000000076C4: 7D92D349
	v_cndmask_b32_e32 v42, 0, v42, vcc                         // 0000000076C8: 00545480
	v_add_u32_e32 v73, 0x83, v72                               // 0000000076CC: 689290FF 00000083
	v_cmp_lt_u32_e32 vcc, v73, v105                            // 0000000076D4: 7D92D349
	v_cndmask_b32_e32 v43, 0, v43, vcc                         // 0000000076D8: 00565680
	v_add_u32_e32 v73, 0xc0, v72                               // 0000000076DC: 689290FF 000000C0
	v_cmp_lt_u32_e32 vcc, v73, v105                            // 0000000076E4: 7D92D349
	v_cndmask_b32_e32 v44, 0, v44, vcc                         // 0000000076E8: 00585880
	v_add_u32_e32 v73, 0xc1, v72                               // 0000000076EC: 689290FF 000000C1
	v_cmp_lt_u32_e32 vcc, v73, v105                            // 0000000076F4: 7D92D349
	v_cndmask_b32_e32 v45, 0, v45, vcc                         // 0000000076F8: 005A5A80
	v_add_u32_e32 v73, 0xc2, v72                               // 0000000076FC: 689290FF 000000C2
	v_cmp_lt_u32_e32 vcc, v73, v105                            // 000000007704: 7D92D349
	v_cndmask_b32_e32 v46, 0, v46, vcc                         // 000000007708: 005C5C80
	v_add_u32_e32 v73, 0xc3, v72                               // 00000000770C: 689290FF 000000C3
	v_cmp_lt_u32_e32 vcc, v73, v105                            // 000000007714: 7D92D349
	v_cndmask_b32_e32 v47, 0, v47, vcc                         // 000000007718: 005E5E80
	v_mov_b32_e32 v92, 0x358637bd                              // 00000000771C: 7EB802FF 358637BD
	v_max3_f32 v92, |v32|, |v33|, v92                          // 000000007724: D1D3035C 05724320
	v_max3_f32 v92, |v34|, |v35|, v92                          // 00000000772C: D1D3035C 05724722
	v_max3_f32 v92, |v36|, |v37|, v92                          // 000000007734: D1D3035C 05724B24
	v_max3_f32 v92, |v38|, |v39|, v92                          // 00000000773C: D1D3035C 05724F26
	v_max3_f32 v92, |v40|, |v41|, v92                          // 000000007744: D1D3035C 05725328
	v_max3_f32 v92, |v42|, |v43|, v92                          // 00000000774C: D1D3035C 0572572A
	v_max3_f32 v92, |v44|, |v45|, v92                          // 000000007754: D1D3035C 05725B2C
	v_max3_f32 v92, |v46|, |v47|, v92                          // 00000000775C: D1D3035C 05725F2E
	ds_write_b32 v128, v92 offset:1280                         // 000000007764: D81A0500 00005C80
	buffer_load_dword v67, v116, s[20:23], 0 offen             // 00000000776C: E0501000 80054374
	v_sub_f32_e32 v94, v96, v97                                // 000000007774: 04BCC360
	v_cmp_eq_u32_e64 s[98:99], v107, v96                       // 000000007778: D0CA0062 0002C16B
	s_nop 0                                                    // 000000007780: BF800000
	v_cndmask_b32_e64 v94, v94, 0, s[98:99]                    // 000000007784: D100005E 0189015E
	v_mov_b32_e32 v96, v97                                     // 00000000778C: 7EC00361
	v_mul_f32_e32 v94, s46, v94                                // 000000007790: 0ABCBC2E
	v_exp_f32_e32 v94, v94                                     // 000000007794: 7EBC415E
	s_nop 0                                                    // 000000007798: BF800000
	v_mov_b32_e32 v95, v94                                     // 00000000779C: 7EBE035E
	buffer_load_dword v69, v117, s[24:27], 0 offen             // 0000000077A0: E0501000 80064575
	s_waitcnt lgkmcnt(0)                                       // 0000000077A8: BF8CC07F
	s_barrier                                                  // 0000000077AC: BF8A0000
	ds_read_b32 v76, v129 offset:1280                          // 0000000077B0: D86C0500 4C000081
	ds_read_b32 v77, v129 offset:1344                          // 0000000077B8: D86C0540 4D000081
	ds_read_b32 v78, v129 offset:1408                          // 0000000077C0: D86C0580 4E000081
	ds_read_b32 v79, v129 offset:1472                          // 0000000077C8: D86C05C0 4F000081
	ds_read_b32 v80, v129 offset:1536                          // 0000000077D0: D86C0600 50000081
	ds_read_b32 v81, v129 offset:1600                          // 0000000077D8: D86C0640 51000081
	ds_read_b32 v82, v129 offset:1664                          // 0000000077E0: D86C0680 52000081
	ds_read_b32 v83, v129 offset:1728                          // 0000000077E8: D86C06C0 53000081
	ds_read_b32 v84, v129 offset:1792                          // 0000000077F0: D86C0700 54000081
	ds_read_b32 v85, v129 offset:1856                          // 0000000077F8: D86C0740 55000081
	ds_read_b32 v86, v129 offset:1920                          // 000000007800: D86C0780 56000081
	ds_read_b32 v87, v129 offset:1984                          // 000000007808: D86C07C0 57000081
	ds_read_b32 v88, v129 offset:2048                          // 000000007810: D86C0800 58000081
	ds_read_b32 v89, v129 offset:2112                          // 000000007818: D86C0840 59000081
	ds_read_b32 v90, v129 offset:2176                          // 000000007820: D86C0880 5A000081
	ds_read_b32 v91, v129 offset:2240                          // 000000007828: D86C08C0 5B000081
	buffer_load_dwordx4 a[96:99], v112, s[16:19], 0 offen      // 000000007830: E05C1000 80846070
	v_mul_f32_e32 v98, v94, v98                                // 000000007838: 0AC4C55E
	v_add_f32_e32 v98, v16, v98                                // 00000000783C: 02C4C510
	v_add_f32_e32 v98, v17, v98                                // 000000007840: 02C4C511
	v_add_f32_e32 v98, v18, v98                                // 000000007844: 02C4C512
	v_add_f32_e32 v98, v19, v98                                // 000000007848: 02C4C513
	v_add_f32_e32 v98, v20, v98                                // 00000000784C: 02C4C514
	v_add_f32_e32 v98, v21, v98                                // 000000007850: 02C4C515
	v_add_f32_e32 v98, v22, v98                                // 000000007854: 02C4C516
	v_add_f32_e32 v98, v23, v98                                // 000000007858: 02C4C517
	v_add_f32_e32 v98, v24, v98                                // 00000000785C: 02C4C518
	v_add_f32_e32 v98, v25, v98                                // 000000007860: 02C4C519
	v_add_f32_e32 v98, v26, v98                                // 000000007864: 02C4C51A
	v_add_f32_e32 v98, v27, v98                                // 000000007868: 02C4C51B
	v_add_f32_e32 v98, v28, v98                                // 00000000786C: 02C4C51C
	v_add_f32_e32 v98, v29, v98                                // 000000007870: 02C4C51D
	v_add_f32_e32 v98, v30, v98                                // 000000007874: 02C4C51E
	v_add_f32_e32 v98, v31, v98                                // 000000007878: 02C4C51F
	buffer_load_dwordx4 a[100:103], v113, s[16:19], 0 offen    // 00000000787C: E05C1000 80846471
	s_waitcnt lgkmcnt(0)                                       // 000000007884: BF8CC07F
	v_max3_f32 v92, v76, v77, v92                              // 000000007888: D1D3005C 05729B4C
	v_max3_f32 v92, v78, v79, v92                              // 000000007890: D1D3005C 05729F4E
	v_max3_f32 v92, v80, v81, v92                              // 000000007898: D1D3005C 0572A350
	v_max3_f32 v92, v82, v83, v92                              // 0000000078A0: D1D3005C 0572A752
	v_max3_f32 v92, v84, v85, v92                              // 0000000078A8: D1D3005C 0572AB54
	v_max3_f32 v92, v86, v87, v92                              // 0000000078B0: D1D3005C 0572AF56
	v_max3_f32 v92, v88, v89, v92                              // 0000000078B8: D1D3005C 0572B358
	v_max3_f32 v92, v90, v91, v92                              // 0000000078C0: D1D3005C 0572B75A
	v_rcp_f32_e32 v92, v92                                     // 0000000078C8: 7EB8455C
	s_nop 0                                                    // 0000000078CC: BF800000
	v_mul_f32_e32 v92, 0x43700000, v92                         // 0000000078D0: 0AB8B8FF 43700000
	v_mov_b32_e32 v93, v92                                     // 0000000078D8: 7EBA035C
	v_pk_mul_f32 v[16:17], v[92:93], v[32:33]                  // 0000000078DC: D3B14010 1802415C
	v_pk_mul_f32 v[18:19], v[92:93], v[34:35]                  // 0000000078E4: D3B14012 1802455C
	v_pk_mul_f32 v[20:21], v[92:93], v[36:37]                  // 0000000078EC: D3B14014 1802495C
	v_pk_mul_f32 v[22:23], v[92:93], v[38:39]                  // 0000000078F4: D3B14016 18024D5C
	v_pk_mul_f32 v[24:25], v[92:93], v[40:41]                  // 0000000078FC: D3B14018 1802515C
	v_pk_mul_f32 v[26:27], v[92:93], v[42:43]                  // 000000007904: D3B1401A 1802555C
	v_pk_mul_f32 v[28:29], v[92:93], v[44:45]                  // 00000000790C: D3B1401C 1802595C
	v_pk_mul_f32 v[30:31], v[92:93], v[46:47]                  // 000000007914: D3B1401E 18025D5C
	v_cvt_pk_fp8_f32 v16, v16, v17                             // 00000000791C: D2A20010 00022310
	v_cvt_pk_fp8_f32 v16, v18, v19 op_sel:[0,0,1]              // 000000007924: D2A24010 00022712
	v_cvt_pk_fp8_f32 v17, v20, v21                             // 00000000792C: D2A20011 00022B14
	v_cvt_pk_fp8_f32 v17, v22, v23 op_sel:[0,0,1]              // 000000007934: D2A24011 00022F16
	v_cvt_pk_fp8_f32 v18, v24, v25                             // 00000000793C: D2A20012 00023318
	v_cvt_pk_fp8_f32 v18, v26, v27 op_sel:[0,0,1]              // 000000007944: D2A24012 0002371A
	v_cvt_pk_fp8_f32 v19, v28, v29                             // 00000000794C: D2A20013 00023B1C
	v_cvt_pk_fp8_f32 v19, v30, v31 op_sel:[0,0,1]              // 000000007954: D2A24013 00023F1E
	ds_write_b32 v130, v16 offset:2560                         // 00000000795C: D81A0A00 00001082
	ds_write_b32 v130, v17 offset:3584                         // 000000007964: D81A0E00 00001182
	ds_write_b32 v130, v18 offset:4608                         // 00000000796C: D81A1200 00001282
	ds_write_b32 v130, v19 offset:5632                         // 000000007974: D81A1600 00001382
	v_rcp_f32_e32 v70, v92                                     // 00000000797C: 7E8C455C
	s_nop 0                                                    // 000000007980: BF800000
	v_mov_b32_e32 v71, v70                                     // 000000007984: 7E8E0346
	buffer_load_dwordx4 a[104:107], v114, s[16:19], 0 offen    // 000000007988: E05C1000 80846872
	v_pk_add_f32 v[56:57], v[56:57], v[48:49]                  // 000000007990: D3B24038 18026138
	v_pk_add_f32 v[58:59], v[58:59], v[50:51]                  // 000000007998: D3B2403A 1802653A
	v_pk_add_f32 v[60:61], v[60:61], v[52:53]                  // 0000000079A0: D3B2403C 1802693C
	v_pk_add_f32 v[62:63], v[62:63], v[54:55]                  // 0000000079A8: D3B2403E 18026D3E
	s_waitcnt lgkmcnt(0)                                       // 0000000079B0: BF8CC07F
	s_barrier                                                  // 0000000079B4: BF8A0000
	ds_read_b128 v[16:19], v131 offset:2560                    // 0000000079B8: D9FE0A00 10000083
	ds_read_b128 v[20:23], v131 offset:3584                    // 0000000079C0: D9FE0E00 14000083
	ds_read_b128 v[24:27], v131 offset:4608                    // 0000000079C8: D9FE1200 18000083
	ds_read_b128 v[28:31], v131 offset:5632                    // 0000000079D0: D9FE1600 1C000083
	buffer_load_dwordx4 a[108:111], v115, s[16:19], 0 offen    // 0000000079D8: E05C1000 80846C73
	s_waitcnt vmcnt(14)                                        // 0000000079E0: BF8C0F7E
	v_lshrrev_b32_e32 v100, 4, v0                              // 0000000079E4: 20C80084
	v_lshlrev_b32_e32 v100, 4, v100                            // 0000000079E8: 24C8C884
	v_add_u32_e32 v72, s64, v100                               // 0000000079EC: 6890C840
	v_add_u32_e32 v72, 4, v72                                  // 0000000079F0: 68909084
	v_sub_i32 v72, v72, s62                                    // 0000000079F4: D29D0048 00007D48
	s_mov_b32 s54, 0                                           // 0000000079FC: BEB60080
	v_add_i32 v73, s54, v72                                    // 000000007A00: D29C0049 00029036
	v_cmp_lt_i32_e64 vcc, v73, 4                               // 000000007A08: D0C1006A 00010949
	v_min_u32_e32 v73, 4, v73                                  // 000000007A10: 1C929284
	v_lshlrev_b32_e32 v73, 3, v73                              // 000000007A14: 24929283
	v_lshrrev_b32_e64 v74, v73, -1                             // 000000007A18: D110004A 00018349
	v_accvgpr_read_b32 v75, a64                                // 000000007A20: D3D8404B 18000140
	v_cndmask_b32_e32 v75, 0, v75, vcc                         // 000000007A28: 00969680
	v_and_b32_e32 v75, v75, v74                                // 000000007A2C: 2696954B
	v_accvgpr_write_b32 a64, v75                               // 000000007A30: D3D94040 1800014B
	v_accvgpr_read_b32 v75, a80                                // 000000007A38: D3D8404B 18000150
	v_cndmask_b32_e32 v75, 0, v75, vcc                         // 000000007A40: 00969680
	v_and_b32_e32 v75, v75, v74                                // 000000007A44: 2696954B
	v_accvgpr_write_b32 a80, v75                               // 000000007A48: D3D94050 1800014B
	s_mov_b32 s54, 4                                           // 000000007A50: BEB60084
	v_add_i32 v73, s54, v72                                    // 000000007A54: D29C0049 00029036
	v_cmp_lt_i32_e64 vcc, v73, 4                               // 000000007A5C: D0C1006A 00010949
	v_min_u32_e32 v73, 4, v73                                  // 000000007A64: 1C929284
	v_lshlrev_b32_e32 v73, 3, v73                              // 000000007A68: 24929283
	v_lshrrev_b32_e64 v74, v73, -1                             // 000000007A6C: D110004A 00018349
	v_accvgpr_read_b32 v75, a65                                // 000000007A74: D3D8404B 18000141
	v_cndmask_b32_e32 v75, 0, v75, vcc                         // 000000007A7C: 00969680
	v_and_b32_e32 v75, v75, v74                                // 000000007A80: 2696954B
	v_accvgpr_write_b32 a65, v75                               // 000000007A84: D3D94041 1800014B
	v_accvgpr_read_b32 v75, a81                                // 000000007A8C: D3D8404B 18000151
	v_cndmask_b32_e32 v75, 0, v75, vcc                         // 000000007A94: 00969680
	v_and_b32_e32 v75, v75, v74                                // 000000007A98: 2696954B
	v_accvgpr_write_b32 a81, v75                               // 000000007A9C: D3D94051 1800014B
	s_mov_b32 s54, 8                                           // 000000007AA4: BEB60088
	v_add_i32 v73, s54, v72                                    // 000000007AA8: D29C0049 00029036
	v_cmp_lt_i32_e64 vcc, v73, 4                               // 000000007AB0: D0C1006A 00010949
	v_min_u32_e32 v73, 4, v73                                  // 000000007AB8: 1C929284
	v_lshlrev_b32_e32 v73, 3, v73                              // 000000007ABC: 24929283
	v_lshrrev_b32_e64 v74, v73, -1                             // 000000007AC0: D110004A 00018349
	v_accvgpr_read_b32 v75, a66                                // 000000007AC8: D3D8404B 18000142
	v_cndmask_b32_e32 v75, 0, v75, vcc                         // 000000007AD0: 00969680
	v_and_b32_e32 v75, v75, v74                                // 000000007AD4: 2696954B
	v_accvgpr_write_b32 a66, v75                               // 000000007AD8: D3D94042 1800014B
	v_accvgpr_read_b32 v75, a82                                // 000000007AE0: D3D8404B 18000152
	v_cndmask_b32_e32 v75, 0, v75, vcc                         // 000000007AE8: 00969680
	v_and_b32_e32 v75, v75, v74                                // 000000007AEC: 2696954B
	v_accvgpr_write_b32 a82, v75                               // 000000007AF0: D3D94052 1800014B
	s_mov_b32 s54, 12                                          // 000000007AF8: BEB6008C
	v_add_i32 v73, s54, v72                                    // 000000007AFC: D29C0049 00029036
	v_cmp_lt_i32_e64 vcc, v73, 4                               // 000000007B04: D0C1006A 00010949
	v_min_u32_e32 v73, 4, v73                                  // 000000007B0C: 1C929284
	v_lshlrev_b32_e32 v73, 3, v73                              // 000000007B10: 24929283
	v_lshrrev_b32_e64 v74, v73, -1                             // 000000007B14: D110004A 00018349
	v_accvgpr_read_b32 v75, a67                                // 000000007B1C: D3D8404B 18000143
	v_cndmask_b32_e32 v75, 0, v75, vcc                         // 000000007B24: 00969680
	v_and_b32_e32 v75, v75, v74                                // 000000007B28: 2696954B
	v_accvgpr_write_b32 a67, v75                               // 000000007B2C: D3D94043 1800014B
	v_accvgpr_read_b32 v75, a83                                // 000000007B34: D3D8404B 18000153
	v_cndmask_b32_e32 v75, 0, v75, vcc                         // 000000007B3C: 00969680
	v_and_b32_e32 v75, v75, v74                                // 000000007B40: 2696954B
	v_accvgpr_write_b32 a83, v75                               // 000000007B44: D3D94053 1800014B
	s_mov_b32 s54, 64                                          // 000000007B4C: BEB600C0
	v_add_i32 v73, s54, v72                                    // 000000007B50: D29C0049 00029036
	v_cmp_lt_i32_e64 vcc, v73, 4                               // 000000007B58: D0C1006A 00010949
	v_min_u32_e32 v73, 4, v73                                  // 000000007B60: 1C929284
	v_lshlrev_b32_e32 v73, 3, v73                              // 000000007B64: 24929283
	v_lshrrev_b32_e64 v74, v73, -1                             // 000000007B68: D110004A 00018349
	v_accvgpr_read_b32 v75, a68                                // 000000007B70: D3D8404B 18000144
	v_cndmask_b32_e32 v75, 0, v75, vcc                         // 000000007B78: 00969680
	v_and_b32_e32 v75, v75, v74                                // 000000007B7C: 2696954B
	v_accvgpr_write_b32 a68, v75                               // 000000007B80: D3D94044 1800014B
	v_accvgpr_read_b32 v75, a84                                // 000000007B88: D3D8404B 18000154
	v_cndmask_b32_e32 v75, 0, v75, vcc                         // 000000007B90: 00969680
	v_and_b32_e32 v75, v75, v74                                // 000000007B94: 2696954B
	v_accvgpr_write_b32 a84, v75                               // 000000007B98: D3D94054 1800014B
	s_mov_b32 s54, 0x44                                        // 000000007BA0: BEB600FF 00000044
	v_add_i32 v73, s54, v72                                    // 000000007BA8: D29C0049 00029036
	v_cmp_lt_i32_e64 vcc, v73, 4                               // 000000007BB0: D0C1006A 00010949
	v_min_u32_e32 v73, 4, v73                                  // 000000007BB8: 1C929284
	v_lshlrev_b32_e32 v73, 3, v73                              // 000000007BBC: 24929283
	v_lshrrev_b32_e64 v74, v73, -1                             // 000000007BC0: D110004A 00018349
	v_accvgpr_read_b32 v75, a69                                // 000000007BC8: D3D8404B 18000145
	v_cndmask_b32_e32 v75, 0, v75, vcc                         // 000000007BD0: 00969680
	v_and_b32_e32 v75, v75, v74                                // 000000007BD4: 2696954B
	v_accvgpr_write_b32 a69, v75                               // 000000007BD8: D3D94045 1800014B
	v_accvgpr_read_b32 v75, a85                                // 000000007BE0: D3D8404B 18000155
	v_cndmask_b32_e32 v75, 0, v75, vcc                         // 000000007BE8: 00969680
	v_and_b32_e32 v75, v75, v74                                // 000000007BEC: 2696954B
	v_accvgpr_write_b32 a85, v75                               // 000000007BF0: D3D94055 1800014B
	s_mov_b32 s54, 0x48                                        // 000000007BF8: BEB600FF 00000048
	v_add_i32 v73, s54, v72                                    // 000000007C00: D29C0049 00029036
	v_cmp_lt_i32_e64 vcc, v73, 4                               // 000000007C08: D0C1006A 00010949
	v_min_u32_e32 v73, 4, v73                                  // 000000007C10: 1C929284
	v_lshlrev_b32_e32 v73, 3, v73                              // 000000007C14: 24929283
	v_lshrrev_b32_e64 v74, v73, -1                             // 000000007C18: D110004A 00018349
	v_accvgpr_read_b32 v75, a70                                // 000000007C20: D3D8404B 18000146
	v_cndmask_b32_e32 v75, 0, v75, vcc                         // 000000007C28: 00969680
	v_and_b32_e32 v75, v75, v74                                // 000000007C2C: 2696954B
	v_accvgpr_write_b32 a70, v75                               // 000000007C30: D3D94046 1800014B
	v_accvgpr_read_b32 v75, a86                                // 000000007C38: D3D8404B 18000156
	v_cndmask_b32_e32 v75, 0, v75, vcc                         // 000000007C40: 00969680
	v_and_b32_e32 v75, v75, v74                                // 000000007C44: 2696954B
	v_accvgpr_write_b32 a86, v75                               // 000000007C48: D3D94056 1800014B
	s_mov_b32 s54, 0x4c                                        // 000000007C50: BEB600FF 0000004C
	v_add_i32 v73, s54, v72                                    // 000000007C58: D29C0049 00029036
	v_cmp_lt_i32_e64 vcc, v73, 4                               // 000000007C60: D0C1006A 00010949
	v_min_u32_e32 v73, 4, v73                                  // 000000007C68: 1C929284
	v_lshlrev_b32_e32 v73, 3, v73                              // 000000007C6C: 24929283
	v_lshrrev_b32_e64 v74, v73, -1                             // 000000007C70: D110004A 00018349
	v_accvgpr_read_b32 v75, a71                                // 000000007C78: D3D8404B 18000147
	v_cndmask_b32_e32 v75, 0, v75, vcc                         // 000000007C80: 00969680
	v_and_b32_e32 v75, v75, v74                                // 000000007C84: 2696954B
	v_accvgpr_write_b32 a71, v75                               // 000000007C88: D3D94047 1800014B
	v_accvgpr_read_b32 v75, a87                                // 000000007C90: D3D8404B 18000157
	v_cndmask_b32_e32 v75, 0, v75, vcc                         // 000000007C98: 00969680
	v_and_b32_e32 v75, v75, v74                                // 000000007C9C: 2696954B
	v_accvgpr_write_b32 a87, v75                               // 000000007CA0: D3D94057 1800014B
	s_mov_b32 s54, 0x80                                        // 000000007CA8: BEB600FF 00000080
	v_add_i32 v73, s54, v72                                    // 000000007CB0: D29C0049 00029036
	v_cmp_lt_i32_e64 vcc, v73, 4                               // 000000007CB8: D0C1006A 00010949
	v_min_u32_e32 v73, 4, v73                                  // 000000007CC0: 1C929284
	v_lshlrev_b32_e32 v73, 3, v73                              // 000000007CC4: 24929283
	v_lshrrev_b32_e64 v74, v73, -1                             // 000000007CC8: D110004A 00018349
	v_accvgpr_read_b32 v75, a72                                // 000000007CD0: D3D8404B 18000148
	v_cndmask_b32_e32 v75, 0, v75, vcc                         // 000000007CD8: 00969680
	v_and_b32_e32 v75, v75, v74                                // 000000007CDC: 2696954B
	v_accvgpr_write_b32 a72, v75                               // 000000007CE0: D3D94048 1800014B
	v_accvgpr_read_b32 v75, a88                                // 000000007CE8: D3D8404B 18000158
	v_cndmask_b32_e32 v75, 0, v75, vcc                         // 000000007CF0: 00969680
	v_and_b32_e32 v75, v75, v74                                // 000000007CF4: 2696954B
	v_accvgpr_write_b32 a88, v75                               // 000000007CF8: D3D94058 1800014B
	s_mov_b32 s54, 0x84                                        // 000000007D00: BEB600FF 00000084
	v_add_i32 v73, s54, v72                                    // 000000007D08: D29C0049 00029036
	v_cmp_lt_i32_e64 vcc, v73, 4                               // 000000007D10: D0C1006A 00010949
	v_min_u32_e32 v73, 4, v73                                  // 000000007D18: 1C929284
	v_lshlrev_b32_e32 v73, 3, v73                              // 000000007D1C: 24929283
	v_lshrrev_b32_e64 v74, v73, -1                             // 000000007D20: D110004A 00018349
	v_accvgpr_read_b32 v75, a73                                // 000000007D28: D3D8404B 18000149
	v_cndmask_b32_e32 v75, 0, v75, vcc                         // 000000007D30: 00969680
	v_and_b32_e32 v75, v75, v74                                // 000000007D34: 2696954B
	v_accvgpr_write_b32 a73, v75                               // 000000007D38: D3D94049 1800014B
	v_accvgpr_read_b32 v75, a89                                // 000000007D40: D3D8404B 18000159
	v_cndmask_b32_e32 v75, 0, v75, vcc                         // 000000007D48: 00969680
	v_and_b32_e32 v75, v75, v74                                // 000000007D4C: 2696954B
	v_accvgpr_write_b32 a89, v75                               // 000000007D50: D3D94059 1800014B
	s_mov_b32 s54, 0x88                                        // 000000007D58: BEB600FF 00000088
	v_add_i32 v73, s54, v72                                    // 000000007D60: D29C0049 00029036
	v_cmp_lt_i32_e64 vcc, v73, 4                               // 000000007D68: D0C1006A 00010949
	v_min_u32_e32 v73, 4, v73                                  // 000000007D70: 1C929284
	v_lshlrev_b32_e32 v73, 3, v73                              // 000000007D74: 24929283
	v_lshrrev_b32_e64 v74, v73, -1                             // 000000007D78: D110004A 00018349
	v_accvgpr_read_b32 v75, a74                                // 000000007D80: D3D8404B 1800014A
	v_cndmask_b32_e32 v75, 0, v75, vcc                         // 000000007D88: 00969680
	v_and_b32_e32 v75, v75, v74                                // 000000007D8C: 2696954B
	v_accvgpr_write_b32 a74, v75                               // 000000007D90: D3D9404A 1800014B
	v_accvgpr_read_b32 v75, a90                                // 000000007D98: D3D8404B 1800015A
	v_cndmask_b32_e32 v75, 0, v75, vcc                         // 000000007DA0: 00969680
	v_and_b32_e32 v75, v75, v74                                // 000000007DA4: 2696954B
	v_accvgpr_write_b32 a90, v75                               // 000000007DA8: D3D9405A 1800014B
	s_mov_b32 s54, 0x8c                                        // 000000007DB0: BEB600FF 0000008C
	v_add_i32 v73, s54, v72                                    // 000000007DB8: D29C0049 00029036
	v_cmp_lt_i32_e64 vcc, v73, 4                               // 000000007DC0: D0C1006A 00010949
	v_min_u32_e32 v73, 4, v73                                  // 000000007DC8: 1C929284
	v_lshlrev_b32_e32 v73, 3, v73                              // 000000007DCC: 24929283
	v_lshrrev_b32_e64 v74, v73, -1                             // 000000007DD0: D110004A 00018349
	v_accvgpr_read_b32 v75, a75                                // 000000007DD8: D3D8404B 1800014B
	v_cndmask_b32_e32 v75, 0, v75, vcc                         // 000000007DE0: 00969680
	v_and_b32_e32 v75, v75, v74                                // 000000007DE4: 2696954B
	v_accvgpr_write_b32 a75, v75                               // 000000007DE8: D3D9404B 1800014B
	v_accvgpr_read_b32 v75, a91                                // 000000007DF0: D3D8404B 1800015B
	v_cndmask_b32_e32 v75, 0, v75, vcc                         // 000000007DF8: 00969680
	v_and_b32_e32 v75, v75, v74                                // 000000007DFC: 2696954B
	v_accvgpr_write_b32 a91, v75                               // 000000007E00: D3D9405B 1800014B
	s_mov_b32 s54, 0xc0                                        // 000000007E08: BEB600FF 000000C0
	v_add_i32 v73, s54, v72                                    // 000000007E10: D29C0049 00029036
	v_cmp_lt_i32_e64 vcc, v73, 4                               // 000000007E18: D0C1006A 00010949
	v_min_u32_e32 v73, 4, v73                                  // 000000007E20: 1C929284
	v_lshlrev_b32_e32 v73, 3, v73                              // 000000007E24: 24929283
	v_lshrrev_b32_e64 v74, v73, -1                             // 000000007E28: D110004A 00018349
	v_accvgpr_read_b32 v75, a76                                // 000000007E30: D3D8404B 1800014C
	v_cndmask_b32_e32 v75, 0, v75, vcc                         // 000000007E38: 00969680
	v_and_b32_e32 v75, v75, v74                                // 000000007E3C: 2696954B
	v_accvgpr_write_b32 a76, v75                               // 000000007E40: D3D9404C 1800014B
	v_accvgpr_read_b32 v75, a92                                // 000000007E48: D3D8404B 1800015C
	v_cndmask_b32_e32 v75, 0, v75, vcc                         // 000000007E50: 00969680
	v_and_b32_e32 v75, v75, v74                                // 000000007E54: 2696954B
	v_accvgpr_write_b32 a92, v75                               // 000000007E58: D3D9405C 1800014B
	s_mov_b32 s54, 0xc4                                        // 000000007E60: BEB600FF 000000C4
	v_add_i32 v73, s54, v72                                    // 000000007E68: D29C0049 00029036
	v_cmp_lt_i32_e64 vcc, v73, 4                               // 000000007E70: D0C1006A 00010949
	v_min_u32_e32 v73, 4, v73                                  // 000000007E78: 1C929284
	v_lshlrev_b32_e32 v73, 3, v73                              // 000000007E7C: 24929283
	v_lshrrev_b32_e64 v74, v73, -1                             // 000000007E80: D110004A 00018349
	v_accvgpr_read_b32 v75, a77                                // 000000007E88: D3D8404B 1800014D
	v_cndmask_b32_e32 v75, 0, v75, vcc                         // 000000007E90: 00969680
	v_and_b32_e32 v75, v75, v74                                // 000000007E94: 2696954B
	v_accvgpr_write_b32 a77, v75                               // 000000007E98: D3D9404D 1800014B
	v_accvgpr_read_b32 v75, a93                                // 000000007EA0: D3D8404B 1800015D
	v_cndmask_b32_e32 v75, 0, v75, vcc                         // 000000007EA8: 00969680
	v_and_b32_e32 v75, v75, v74                                // 000000007EAC: 2696954B
	v_accvgpr_write_b32 a93, v75                               // 000000007EB0: D3D9405D 1800014B
	s_mov_b32 s54, 0xc8                                        // 000000007EB8: BEB600FF 000000C8
	v_add_i32 v73, s54, v72                                    // 000000007EC0: D29C0049 00029036
	v_cmp_lt_i32_e64 vcc, v73, 4                               // 000000007EC8: D0C1006A 00010949
	v_min_u32_e32 v73, 4, v73                                  // 000000007ED0: 1C929284
	v_lshlrev_b32_e32 v73, 3, v73                              // 000000007ED4: 24929283
	v_lshrrev_b32_e64 v74, v73, -1                             // 000000007ED8: D110004A 00018349
	v_accvgpr_read_b32 v75, a78                                // 000000007EE0: D3D8404B 1800014E
	v_cndmask_b32_e32 v75, 0, v75, vcc                         // 000000007EE8: 00969680
	v_and_b32_e32 v75, v75, v74                                // 000000007EEC: 2696954B
	v_accvgpr_write_b32 a78, v75                               // 000000007EF0: D3D9404E 1800014B
	v_accvgpr_read_b32 v75, a94                                // 000000007EF8: D3D8404B 1800015E
	v_cndmask_b32_e32 v75, 0, v75, vcc                         // 000000007F00: 00969680
	v_and_b32_e32 v75, v75, v74                                // 000000007F04: 2696954B
	v_accvgpr_write_b32 a94, v75                               // 000000007F08: D3D9405E 1800014B
	s_mov_b32 s54, 0xcc                                        // 000000007F10: BEB600FF 000000CC
	v_add_i32 v73, s54, v72                                    // 000000007F18: D29C0049 00029036
	v_cmp_lt_i32_e64 vcc, v73, 4                               // 000000007F20: D0C1006A 00010949
	v_min_u32_e32 v73, 4, v73                                  // 000000007F28: 1C929284
	v_lshlrev_b32_e32 v73, 3, v73                              // 000000007F2C: 24929283
	v_lshrrev_b32_e64 v74, v73, -1                             // 000000007F30: D110004A 00018349
	v_accvgpr_read_b32 v75, a79                                // 000000007F38: D3D8404B 1800014F
	v_cndmask_b32_e32 v75, 0, v75, vcc                         // 000000007F40: 00969680
	v_and_b32_e32 v75, v75, v74                                // 000000007F44: 2696954B
	v_accvgpr_write_b32 a79, v75                               // 000000007F48: D3D9404F 1800014B
	v_accvgpr_read_b32 v75, a95                                // 000000007F50: D3D8404B 1800015F
	v_cndmask_b32_e32 v75, 0, v75, vcc                         // 000000007F58: 00969680
	v_and_b32_e32 v75, v75, v74                                // 000000007F5C: 2696954B
	v_accvgpr_write_b32 a95, v75                               // 000000007F60: D3D9405F 1800014B
	s_waitcnt lgkmcnt(3)                                       // 000000007F68: BF8CC37F
	v_mfma_f32_16x16x32_fp8_fp8 v[48:51], a[64:65], v[16:17], 0// 000000007F6C: D3F30030 0A022140
	s_lshl_b32 s68, s76, 2                                     // 000000007F74: 8E44824C
	v_mfma_f32_16x16x32_fp8_fp8 v[52:55], a[80:81], v[16:17], 0// 000000007F78: D3F30034 0A022150
	s_cmp_lt_u32 s76, s77                                      // 000000007F80: BF0A4D4C
	s_cselect_b32 s68, s68, 0                                  // 000000007F84: 85448044
	v_mfma_f32_16x16x32_fp8_fp8 v[48:51], a[66:67], v[18:19], v[48:51]// 000000007F88: D3F30030 0CC22542
	buffer_load_dwordx4 a[112:115], v112, s[16:19], 0 offen offset:1024// 000000007F90: E05C1400 80847070
	v_mfma_f32_16x16x32_fp8_fp8 v[52:55], a[82:83], v[18:19], v[52:55]// 000000007F98: D3F30034 0CD22552
	s_addk_i32 s76, 0x1                                        // 000000007FA0: B74C0001
	s_waitcnt lgkmcnt(2)                                       // 000000007FA4: BF8CC27F
	v_mfma_f32_16x16x32_fp8_fp8 v[48:51], a[68:69], v[20:21], v[48:51]// 000000007FA8: D3F30030 0CC22944
	v_mfma_f32_16x16x32_fp8_fp8 v[52:55], a[84:85], v[20:21], v[52:55]// 000000007FB0: D3F30034 0CD22954
	v_mfma_f32_16x16x32_fp8_fp8 v[48:51], a[70:71], v[22:23], v[48:51]// 000000007FB8: D3F30030 0CC22D46
	buffer_load_dwordx4 a[116:119], v113, s[16:19], 0 offen offset:1024// 000000007FC0: E05C1400 80847471
	v_mfma_f32_16x16x32_fp8_fp8 v[52:55], a[86:87], v[22:23], v[52:55]// 000000007FC8: D3F30034 0CD22D56
	s_waitcnt lgkmcnt(1)                                       // 000000007FD0: BF8CC17F
	v_mfma_f32_16x16x32_fp8_fp8 v[48:51], a[72:73], v[24:25], v[48:51]// 000000007FD4: D3F30030 0CC23148
	v_mfma_f32_16x16x32_fp8_fp8 v[52:55], a[88:89], v[24:25], v[52:55]// 000000007FDC: D3F30034 0CD23158
	v_mfma_f32_16x16x32_fp8_fp8 v[48:51], a[74:75], v[26:27], v[48:51]// 000000007FE4: D3F30030 0CC2354A
	buffer_load_dwordx4 a[120:123], v114, s[16:19], 0 offen offset:1024// 000000007FEC: E05C1400 80847872
	v_mfma_f32_16x16x32_fp8_fp8 v[52:55], a[90:91], v[26:27], v[52:55]// 000000007FF4: D3F30034 0CD2355A
	s_waitcnt lgkmcnt(0)                                       // 000000007FFC: BF8CC07F
	v_mfma_f32_16x16x32_fp8_fp8 v[48:51], a[76:77], v[28:29], v[48:51]// 000000008000: D3F30030 0CC2394C
	v_mfma_f32_16x16x32_fp8_fp8 v[52:55], a[92:93], v[28:29], v[52:55]// 000000008008: D3F30034 0CD2395C
	v_mfma_f32_16x16x32_fp8_fp8 v[48:51], a[78:79], v[30:31], v[48:51]// 000000008010: D3F30030 0CC23D4E
	buffer_load_dwordx4 a[124:127], v115, s[16:19], 0 offen offset:1024// 000000008018: E05C1400 80847C73
	v_mfma_f32_16x16x32_fp8_fp8 v[52:55], a[94:95], v[30:31], v[52:55]// 000000008020: D3F30034 0CD23D5E
	s_load_dword s59, s[42:43], s68                            // 000000008028: C0000ED5 00000044
	s_addk_i32 s64, 0x100                                      // 000000008030: B7400100

0000000000008034 <label_160D>:
	s_cmp_lt_i32 s64, s62                                      // 000000008034: BF043E40
	s_cbranch_scc0 label_21EB                                  // 000000008038: BF840BDC
	s_waitcnt vmcnt(10)                                        // 00000000803C: BF8C0F7A
	v_mfma_f32_16x16x32_fp8_fp8 v[16:19], a[32:33], v[8:9], 0  // 000000008040: D3F30010 0A021120
	s_add_u32 s12, s86, s69                                    // 000000008048: 800C4556
	s_addc_u32 s13, s87, 0                                     // 00000000804C: 820D8057
	v_mfma_f32_16x16x32_fp8_fp8 v[16:19], a[34:35], v[10:11], v[16:19]// 000000008050: D3F30010 0C421522
	s_add_u32 s16, s88, s70                                    // 000000008058: 80104658
	s_addc_u32 s17, s89, 0                                     // 00000000805C: 82118059
	v_mfma_f32_16x16x32_fp8_fp8 v[16:19], a[36:37], v[12:13], v[16:19]// 000000008060: D3F30010 0C421924
	buffer_load_dwordx4 a[0:3], v110, s[12:15], 0 offen        // 000000008068: E05C1000 8083006E
	v_mfma_f32_16x16x32_fp8_fp8 v[16:19], a[38:39], v[14:15], v[16:19]// 000000008070: D3F30010 0C421D26
	s_add_u32 s20, s90, s71                                    // 000000008078: 8014475A
	s_addc_u32 s21, s91, 0                                     // 00000000807C: 8215805B
	v_mfma_f32_16x16x32_fp8_fp8 v[20:23], a[40:41], v[8:9], 0  // 000000008080: D3F30014 0A021128
	s_add_u32 s24, s92, s71                                    // 000000008088: 8018475C
	s_addc_u32 s25, s93, 0                                     // 00000000808C: 8219805D
	v_mfma_f32_16x16x32_fp8_fp8 v[20:23], a[42:43], v[10:11], v[20:23]// 000000008090: D3F30014 0C52152A
	s_add_u32 s69, s69, 0x1000                                 // 000000008098: 8045FF45 00001000
	s_add_u32 s70, s70, 0x8000                                 // 0000000080A0: 8046FF46 00008000
	v_mfma_f32_16x16x32_fp8_fp8 v[20:23], a[44:45], v[12:13], v[20:23]// 0000000080A8: D3F30014 0C52192C
	buffer_load_dwordx4 a[4:7], v111, s[12:15], 0 offen        // 0000000080B0: E05C1000 8083046F
	v_mfma_f32_16x16x32_fp8_fp8 v[20:23], a[46:47], v[14:15], v[20:23]// 0000000080B8: D3F30014 0C521D2E
	s_add_u32 s71, s71, 0x400                                  // 0000000080C0: 8047FF47 00000400
	v_mfma_f32_16x16x32_fp8_fp8 v[24:27], a[48:49], v[8:9], 0  // 0000000080C8: D3F30018 0A021130
	v_mfma_f32_16x16x32_fp8_fp8 v[24:27], a[50:51], v[10:11], v[24:27]// 0000000080D0: D3F30018 0C621532
	v_mfma_f32_16x16x32_fp8_fp8 v[24:27], a[52:53], v[12:13], v[24:27]// 0000000080D8: D3F30018 0C621934
	buffer_load_dwordx4 a[8:11], v110, s[12:15], 0 offen offset:1024// 0000000080E0: E05C1400 8083086E
	v_mfma_f32_16x16x32_fp8_fp8 v[24:27], a[54:55], v[14:15], v[24:27]// 0000000080E8: D3F30018 0C621D36
	v_mfma_f32_16x16x32_fp8_fp8 v[28:31], a[56:57], v[8:9], 0  // 0000000080F0: D3F3001C 0A021138
	v_mfma_f32_16x16x32_fp8_fp8 v[28:31], a[58:59], v[10:11], v[28:31]// 0000000080F8: D3F3001C 0C72153A
	v_mfma_f32_16x16x32_fp8_fp8 v[28:31], a[60:61], v[12:13], v[28:31]// 000000008100: D3F3001C 0C72193C
	buffer_load_dwordx4 a[12:15], v111, s[12:15], 0 offen offset:1024// 000000008108: E05C1400 80830C6F
	v_mfma_f32_16x16x32_fp8_fp8 v[28:31], a[62:63], v[14:15], v[28:31]// 000000008110: D3F3001C 0C721D3E
	s_waitcnt vmcnt(12)                                        // 000000008118: BF8C0F7C
	v_pk_mul_f32 v[16:17], v[64:65], v[16:17]                  // 00000000811C: D3B14010 18022140
	v_pk_mul_f32 v[18:19], v[64:65], v[18:19]                  // 000000008124: D3B14012 18022540
	v_mul_f32_dpp v16, v67, v16 row_newbcast:0 row_mask:0xf bank_mask:0xf// 00000000812C: 0A2020FA FF015043
	v_mul_f32_dpp v17, v67, v17 row_newbcast:1 row_mask:0xf bank_mask:0xf// 000000008134: 0A2222FA FF015143
	v_mul_f32_dpp v18, v67, v18 row_newbcast:2 row_mask:0xf bank_mask:0xf// 00000000813C: 0A2424FA FF015243
	v_mul_f32_dpp v19, v67, v19 row_newbcast:3 row_mask:0xf bank_mask:0xf// 000000008144: 0A2626FA FF015343
	v_pk_mul_f32 v[20:21], v[64:65], v[20:21]                  // 00000000814C: D3B14014 18022940
	v_pk_mul_f32 v[22:23], v[64:65], v[22:23]                  // 000000008154: D3B14016 18022D40
	v_mul_f32_dpp v20, v67, v20 row_newbcast:4 row_mask:0xf bank_mask:0xf// 00000000815C: 0A2828FA FF015443
	v_mul_f32_dpp v21, v67, v21 row_newbcast:5 row_mask:0xf bank_mask:0xf// 000000008164: 0A2A2AFA FF015543
	v_mul_f32_dpp v22, v67, v22 row_newbcast:6 row_mask:0xf bank_mask:0xf// 00000000816C: 0A2C2CFA FF015643
	v_mul_f32_dpp v23, v67, v23 row_newbcast:7 row_mask:0xf bank_mask:0xf// 000000008174: 0A2E2EFA FF015743
	v_pk_mul_f32 v[24:25], v[64:65], v[24:25]                  // 00000000817C: D3B14018 18023140
	v_pk_mul_f32 v[26:27], v[64:65], v[26:27]                  // 000000008184: D3B1401A 18023540
	v_mul_f32_dpp v24, v67, v24 row_newbcast:8 row_mask:0xf bank_mask:0xf// 00000000818C: 0A3030FA FF015843
	v_mul_f32_dpp v25, v67, v25 row_newbcast:9 row_mask:0xf bank_mask:0xf// 000000008194: 0A3232FA FF015943
	v_mul_f32_dpp v26, v67, v26 row_newbcast:10 row_mask:0xf bank_mask:0xf// 00000000819C: 0A3434FA FF015A43
	v_mul_f32_dpp v27, v67, v27 row_newbcast:11 row_mask:0xf bank_mask:0xf// 0000000081A4: 0A3636FA FF015B43
	v_pk_mul_f32 v[28:29], v[64:65], v[28:29]                  // 0000000081AC: D3B1401C 18023940
	v_pk_mul_f32 v[30:31], v[64:65], v[30:31]                  // 0000000081B4: D3B1401E 18023D40
	v_mul_f32_dpp v28, v67, v28 row_newbcast:12 row_mask:0xf bank_mask:0xf// 0000000081BC: 0A3838FA FF015C43
	v_mul_f32_dpp v29, v67, v29 row_newbcast:13 row_mask:0xf bank_mask:0xf// 0000000081C4: 0A3A3AFA FF015D43
	v_mul_f32_dpp v30, v67, v30 row_newbcast:14 row_mask:0xf bank_mask:0xf// 0000000081CC: 0A3C3CFA FF015E43
	v_mul_f32_dpp v31, v67, v31 row_newbcast:15 row_mask:0xf bank_mask:0xf// 0000000081D4: 0A3E3EFA FF015F43
	buffer_load_dwordx4 a[16:19], v110, s[12:15], 0 offen offset:2048// 0000000081DC: E05C1800 8083106E
	v_add_u32_e32 v72, s64, v106                               // 0000000081E4: 6890D440
	v_add_u32_e32 v73, 0, v72                                  // 0000000081E8: 68929080
	v_cmp_lt_u32_e64 s[98:99], v73, v105                       // 0000000081EC: D0C90062 0002D349
	s_nop 0                                                    // 0000000081F4: BF800000
	v_cndmask_b32_e64 v16, v107, v16, s[98:99]                 // 0000000081F8: D1000010 018A216B
	v_add_u32_e32 v73, 1, v72                                  // 000000008200: 68929081
	v_cmp_lt_u32_e64 s[98:99], v73, v105                       // 000000008204: D0C90062 0002D349
	s_nop 0                                                    // 00000000820C: BF800000
	v_cndmask_b32_e64 v17, v107, v17, s[98:99]                 // 000000008210: D1000011 018A236B
	v_add_u32_e32 v73, 2, v72                                  // 000000008218: 68929082
	v_cmp_lt_u32_e64 s[98:99], v73, v105                       // 00000000821C: D0C90062 0002D349
	s_nop 0                                                    // 000000008224: BF800000
	v_cndmask_b32_e64 v18, v107, v18, s[98:99]                 // 000000008228: D1000012 018A256B
	v_add_u32_e32 v73, 3, v72                                  // 000000008230: 68929083
	v_cmp_lt_u32_e64 s[98:99], v73, v105                       // 000000008234: D0C90062 0002D349
	s_nop 0                                                    // 00000000823C: BF800000
	v_cndmask_b32_e64 v19, v107, v19, s[98:99]                 // 000000008240: D1000013 018A276B
	v_add_u32_e32 v73, 64, v72                                 // 000000008248: 689290C0
	v_cmp_lt_u32_e64 s[98:99], v73, v105                       // 00000000824C: D0C90062 0002D349
	s_nop 0                                                    // 000000008254: BF800000
	v_cndmask_b32_e64 v20, v107, v20, s[98:99]                 // 000000008258: D1000014 018A296B
	v_add_u32_e32 v73, 0x41, v72                               // 000000008260: 689290FF 00000041
	v_cmp_lt_u32_e64 s[98:99], v73, v105                       // 000000008268: D0C90062 0002D349
	s_nop 0                                                    // 000000008270: BF800000
	v_cndmask_b32_e64 v21, v107, v21, s[98:99]                 // 000000008274: D1000015 018A2B6B
	v_add_u32_e32 v73, 0x42, v72                               // 00000000827C: 689290FF 00000042
	v_cmp_lt_u32_e64 s[98:99], v73, v105                       // 000000008284: D0C90062 0002D349
	s_nop 0                                                    // 00000000828C: BF800000
	v_cndmask_b32_e64 v22, v107, v22, s[98:99]                 // 000000008290: D1000016 018A2D6B
	v_add_u32_e32 v73, 0x43, v72                               // 000000008298: 689290FF 00000043
	v_cmp_lt_u32_e64 s[98:99], v73, v105                       // 0000000082A0: D0C90062 0002D349
	s_nop 0                                                    // 0000000082A8: BF800000
	v_cndmask_b32_e64 v23, v107, v23, s[98:99]                 // 0000000082AC: D1000017 018A2F6B
	v_add_u32_e32 v73, 0x80, v72                               // 0000000082B4: 689290FF 00000080
	v_cmp_lt_u32_e64 s[98:99], v73, v105                       // 0000000082BC: D0C90062 0002D349
	s_nop 0                                                    // 0000000082C4: BF800000
	v_cndmask_b32_e64 v24, v107, v24, s[98:99]                 // 0000000082C8: D1000018 018A316B
	v_add_u32_e32 v73, 0x81, v72                               // 0000000082D0: 689290FF 00000081
	v_cmp_lt_u32_e64 s[98:99], v73, v105                       // 0000000082D8: D0C90062 0002D349
	s_nop 0                                                    // 0000000082E0: BF800000
	v_cndmask_b32_e64 v25, v107, v25, s[98:99]                 // 0000000082E4: D1000019 018A336B
	v_add_u32_e32 v73, 0x82, v72                               // 0000000082EC: 689290FF 00000082
	v_cmp_lt_u32_e64 s[98:99], v73, v105                       // 0000000082F4: D0C90062 0002D349
	s_nop 0                                                    // 0000000082FC: BF800000
	v_cndmask_b32_e64 v26, v107, v26, s[98:99]                 // 000000008300: D100001A 018A356B
	v_add_u32_e32 v73, 0x83, v72                               // 000000008308: 689290FF 00000083
	v_cmp_lt_u32_e64 s[98:99], v73, v105                       // 000000008310: D0C90062 0002D349
	s_nop 0                                                    // 000000008318: BF800000
	v_cndmask_b32_e64 v27, v107, v27, s[98:99]                 // 00000000831C: D100001B 018A376B
	v_add_u32_e32 v73, 0xc0, v72                               // 000000008324: 689290FF 000000C0
	v_cmp_lt_u32_e64 s[98:99], v73, v105                       // 00000000832C: D0C90062 0002D349
	s_nop 0                                                    // 000000008334: BF800000
	v_cndmask_b32_e64 v28, v107, v28, s[98:99]                 // 000000008338: D100001C 018A396B
	v_add_u32_e32 v73, 0xc1, v72                               // 000000008340: 689290FF 000000C1
	v_cmp_lt_u32_e64 s[98:99], v73, v105                       // 000000008348: D0C90062 0002D349
	s_nop 0                                                    // 000000008350: BF800000
	v_cndmask_b32_e64 v29, v107, v29, s[98:99]                 // 000000008354: D100001D 018A3B6B
	v_add_u32_e32 v73, 0xc2, v72                               // 00000000835C: 689290FF 000000C2
	v_cmp_lt_u32_e64 s[98:99], v73, v105                       // 000000008364: D0C90062 0002D349
	s_nop 0                                                    // 00000000836C: BF800000
	v_cndmask_b32_e64 v30, v107, v30, s[98:99]                 // 000000008370: D100001E 018A3D6B
	v_add_u32_e32 v73, 0xc3, v72                               // 000000008378: 689290FF 000000C3
	v_cmp_lt_u32_e64 s[98:99], v73, v105                       // 000000008380: D0C90062 0002D349
	s_nop 0                                                    // 000000008388: BF800000
	v_cndmask_b32_e64 v31, v107, v31, s[98:99]                 // 00000000838C: D100001F 018A3F6B
	v_mov_b32_e32 v92, v16                                     // 000000008394: 7EB80310
	v_max3_f32 v92, v16, v17, v92                              // 000000008398: D1D3005C 05722310
	v_max3_f32 v92, v18, v19, v92                              // 0000000083A0: D1D3005C 05722712
	v_max3_f32 v92, v20, v21, v92                              // 0000000083A8: D1D3005C 05722B14
	v_max3_f32 v92, v22, v23, v92                              // 0000000083B0: D1D3005C 05722F16
	v_max3_f32 v92, v24, v25, v92                              // 0000000083B8: D1D3005C 05723318
	v_max3_f32 v92, v26, v27, v92                              // 0000000083C0: D1D3005C 0572371A
	v_max3_f32 v92, v28, v29, v92                              // 0000000083C8: D1D3005C 05723B1C
	v_max3_f32 v92, v30, v31, v92                              // 0000000083D0: D1D3005C 05723F1E
	ds_write_b32 v128, v92                                     // 0000000083D8: D81A0000 00005C80
	v_pk_mul_f32 v[56:57], v[94:95], v[56:57]                  // 0000000083E0: D3B14038 1802715E
	v_pk_mul_f32 v[58:59], v[94:95], v[58:59]                  // 0000000083E8: D3B1403A 1802755E
	v_pk_mul_f32 v[60:61], v[94:95], v[60:61]                  // 0000000083F0: D3B1403C 1802795E
	v_pk_mul_f32 v[62:63], v[94:95], v[62:63]                  // 0000000083F8: D3B1403E 18027D5E
	buffer_load_dwordx4 a[20:23], v111, s[12:15], 0 offen offset:2048// 000000008400: E05C1800 8083146F
	s_waitcnt lgkmcnt(0)                                       // 000000008408: BF8CC07F
	s_barrier                                                  // 00000000840C: BF8A0000
	ds_read_b32 v76, v129                                      // 000000008410: D86C0000 4C000081
	ds_read_b32 v77, v129 offset:64                            // 000000008418: D86C0040 4D000081
	ds_read_b32 v78, v129 offset:128                           // 000000008420: D86C0080 4E000081
	ds_read_b32 v79, v129 offset:192                           // 000000008428: D86C00C0 4F000081
	ds_read_b32 v80, v129 offset:256                           // 000000008430: D86C0100 50000081
	ds_read_b32 v81, v129 offset:320                           // 000000008438: D86C0140 51000081
	ds_read_b32 v82, v129 offset:384                           // 000000008440: D86C0180 52000081
	ds_read_b32 v83, v129 offset:448                           // 000000008448: D86C01C0 53000081
	ds_read_b32 v84, v129 offset:512                           // 000000008450: D86C0200 54000081
	ds_read_b32 v85, v129 offset:576                           // 000000008458: D86C0240 55000081
	ds_read_b32 v86, v129 offset:640                           // 000000008460: D86C0280 56000081
	ds_read_b32 v87, v129 offset:704                           // 000000008468: D86C02C0 57000081
	ds_read_b32 v88, v129 offset:768                           // 000000008470: D86C0300 58000081
	ds_read_b32 v89, v129 offset:832                           // 000000008478: D86C0340 59000081
	ds_read_b32 v90, v129 offset:896                           // 000000008480: D86C0380 5A000081
	ds_read_b32 v91, v129 offset:960                           // 000000008488: D86C03C0 5B000081
	buffer_load_dwordx4 a[28:31], v111, s[12:15], 0 offen offset:3072// 000000008490: E05C1C00 80831C6F
	v_pk_mul_f32 v[48:49], v[70:71], v[48:49]                  // 000000008498: D3B14030 18026146
	v_pk_mul_f32 v[50:51], v[70:71], v[50:51]                  // 0000000084A0: D3B14032 18026546
	v_pk_mul_f32 v[52:53], v[70:71], v[52:53]                  // 0000000084A8: D3B14034 18026946
	v_pk_mul_f32 v[54:55], v[70:71], v[54:55]                  // 0000000084B0: D3B14036 18026D46
	buffer_load_dwordx4 a[24:27], v110, s[12:15], 0 offen offset:3072// 0000000084B8: E05C1C00 8083186E
	s_waitcnt lgkmcnt(0)                                       // 0000000084C0: BF8CC07F
	v_max3_f32 v92, v76, v77, v92                              // 0000000084C4: D1D3005C 05729B4C
	v_max3_f32 v92, v78, v79, v92                              // 0000000084CC: D1D3005C 05729F4E
	v_max3_f32 v92, v80, v81, v92                              // 0000000084D4: D1D3005C 0572A350
	v_max3_f32 v92, v82, v83, v92                              // 0000000084DC: D1D3005C 0572A752
	v_max3_f32 v92, v84, v85, v92                              // 0000000084E4: D1D3005C 0572AB54
	v_max3_f32 v92, v86, v87, v92                              // 0000000084EC: D1D3005C 0572AF56
	v_max3_f32 v92, v88, v89, v92                              // 0000000084F4: D1D3005C 0572B358
	v_max3_f32 v92, v90, v91, v92                              // 0000000084FC: D1D3005C 0572B75A
	v_max_f32_e32 v97, v92, v96                                // 000000008504: 16C2C15C
	v_mul_f32_e64 v72, -s46, v97                               // 000000008508: D1050048 2002C22E
	v_mov_b32_e32 v73, v72                                     // 000000008510: 7E920348
	v_pk_fma_f32 v[16:17], v[16:17], s[46:47], v[72:73]        // 000000008514: D3B04010 1D205D10
	v_pk_fma_f32 v[18:19], v[18:19], s[46:47], v[72:73]        // 00000000851C: D3B04012 1D205D12
	v_exp_f32_e32 v16, v16                                     // 000000008524: 7E204110
	v_exp_f32_e32 v17, v17                                     // 000000008528: 7E224111
	v_exp_f32_e32 v18, v18                                     // 00000000852C: 7E244112
	v_exp_f32_e32 v19, v19                                     // 000000008530: 7E264113
	v_pk_fma_f32 v[20:21], v[20:21], s[46:47], v[72:73]        // 000000008534: D3B04014 1D205D14
	v_pk_fma_f32 v[22:23], v[22:23], s[46:47], v[72:73]        // 00000000853C: D3B04016 1D205D16
	v_exp_f32_e32 v20, v20                                     // 000000008544: 7E284114
	v_exp_f32_e32 v21, v21                                     // 000000008548: 7E2A4115
	v_exp_f32_e32 v22, v22                                     // 00000000854C: 7E2C4116
	v_exp_f32_e32 v23, v23                                     // 000000008550: 7E2E4117
	v_pk_fma_f32 v[24:25], v[24:25], s[46:47], v[72:73]        // 000000008554: D3B04018 1D205D18
	v_pk_fma_f32 v[26:27], v[26:27], s[46:47], v[72:73]        // 00000000855C: D3B0401A 1D205D1A
	v_exp_f32_e32 v24, v24                                     // 000000008564: 7E304118
	v_exp_f32_e32 v25, v25                                     // 000000008568: 7E324119
	v_exp_f32_e32 v26, v26                                     // 00000000856C: 7E34411A
	v_exp_f32_e32 v27, v27                                     // 000000008570: 7E36411B
	v_pk_fma_f32 v[28:29], v[28:29], s[46:47], v[72:73]        // 000000008574: D3B0401C 1D205D1C
	v_pk_fma_f32 v[30:31], v[30:31], s[46:47], v[72:73]        // 00000000857C: D3B0401E 1D205D1E
	v_exp_f32_e32 v28, v28                                     // 000000008584: 7E38411C
	v_exp_f32_e32 v29, v29                                     // 000000008588: 7E3A411D
	v_exp_f32_e32 v30, v30                                     // 00000000858C: 7E3C411E
	v_exp_f32_e32 v31, v31                                     // 000000008590: 7E3E411F
	v_mul_f32_dpp v32, v69, v16 row_newbcast:0 row_mask:0xf bank_mask:0xf// 000000008594: 0A4020FA FF015045
	v_mul_f32_dpp v33, v69, v17 row_newbcast:1 row_mask:0xf bank_mask:0xf// 00000000859C: 0A4222FA FF015145
	v_mul_f32_dpp v34, v69, v18 row_newbcast:2 row_mask:0xf bank_mask:0xf// 0000000085A4: 0A4424FA FF015245
	v_mul_f32_dpp v35, v69, v19 row_newbcast:3 row_mask:0xf bank_mask:0xf// 0000000085AC: 0A4626FA FF015345
	v_mul_f32_dpp v36, v69, v20 row_newbcast:4 row_mask:0xf bank_mask:0xf// 0000000085B4: 0A4828FA FF015445
	v_mul_f32_dpp v37, v69, v21 row_newbcast:5 row_mask:0xf bank_mask:0xf// 0000000085BC: 0A4A2AFA FF015545
	v_mul_f32_dpp v38, v69, v22 row_newbcast:6 row_mask:0xf bank_mask:0xf// 0000000085C4: 0A4C2CFA FF015645
	v_mul_f32_dpp v39, v69, v23 row_newbcast:7 row_mask:0xf bank_mask:0xf// 0000000085CC: 0A4E2EFA FF015745
	v_mul_f32_dpp v40, v69, v24 row_newbcast:8 row_mask:0xf bank_mask:0xf// 0000000085D4: 0A5030FA FF015845
	v_mul_f32_dpp v41, v69, v25 row_newbcast:9 row_mask:0xf bank_mask:0xf// 0000000085DC: 0A5232FA FF015945
	v_mul_f32_dpp v42, v69, v26 row_newbcast:10 row_mask:0xf bank_mask:0xf// 0000000085E4: 0A5434FA FF015A45
	v_mul_f32_dpp v43, v69, v27 row_newbcast:11 row_mask:0xf bank_mask:0xf// 0000000085EC: 0A5636FA FF015B45
	v_mul_f32_dpp v44, v69, v28 row_newbcast:12 row_mask:0xf bank_mask:0xf// 0000000085F4: 0A5838FA FF015C45
	v_mul_f32_dpp v45, v69, v29 row_newbcast:13 row_mask:0xf bank_mask:0xf// 0000000085FC: 0A5A3AFA FF015D45
	v_mul_f32_dpp v46, v69, v30 row_newbcast:14 row_mask:0xf bank_mask:0xf// 000000008604: 0A5C3CFA FF015E45
	v_mul_f32_dpp v47, v69, v31 row_newbcast:15 row_mask:0xf bank_mask:0xf// 00000000860C: 0A5E3EFA FF015F45
	v_add_u32_e32 v72, s64, v106                               // 000000008614: 6890D440
	v_add_u32_e32 v73, 0, v72                                  // 000000008618: 68929080
	v_cmp_lt_u32_e32 vcc, v73, v105                            // 00000000861C: 7D92D349
	v_cndmask_b32_e32 v32, 0, v32, vcc                         // 000000008620: 00404080
	v_add_u32_e32 v73, 1, v72                                  // 000000008624: 68929081
	v_cmp_lt_u32_e32 vcc, v73, v105                            // 000000008628: 7D92D349
	v_cndmask_b32_e32 v33, 0, v33, vcc                         // 00000000862C: 00424280
	v_add_u32_e32 v73, 2, v72                                  // 000000008630: 68929082
	v_cmp_lt_u32_e32 vcc, v73, v105                            // 000000008634: 7D92D349
	v_cndmask_b32_e32 v34, 0, v34, vcc                         // 000000008638: 00444480
	v_add_u32_e32 v73, 3, v72                                  // 00000000863C: 68929083
	v_cmp_lt_u32_e32 vcc, v73, v105                            // 000000008640: 7D92D349
	v_cndmask_b32_e32 v35, 0, v35, vcc                         // 000000008644: 00464680
	v_add_u32_e32 v73, 64, v72                                 // 000000008648: 689290C0
	v_cmp_lt_u32_e32 vcc, v73, v105                            // 00000000864C: 7D92D349
	v_cndmask_b32_e32 v36, 0, v36, vcc                         // 000000008650: 00484880
	v_add_u32_e32 v73, 0x41, v72                               // 000000008654: 689290FF 00000041
	v_cmp_lt_u32_e32 vcc, v73, v105                            // 00000000865C: 7D92D349
	v_cndmask_b32_e32 v37, 0, v37, vcc                         // 000000008660: 004A4A80
	v_add_u32_e32 v73, 0x42, v72                               // 000000008664: 689290FF 00000042
	v_cmp_lt_u32_e32 vcc, v73, v105                            // 00000000866C: 7D92D349
	v_cndmask_b32_e32 v38, 0, v38, vcc                         // 000000008670: 004C4C80
	v_add_u32_e32 v73, 0x43, v72                               // 000000008674: 689290FF 00000043
	v_cmp_lt_u32_e32 vcc, v73, v105                            // 00000000867C: 7D92D349
	v_cndmask_b32_e32 v39, 0, v39, vcc                         // 000000008680: 004E4E80
	v_add_u32_e32 v73, 0x80, v72                               // 000000008684: 689290FF 00000080
	v_cmp_lt_u32_e32 vcc, v73, v105                            // 00000000868C: 7D92D349
	v_cndmask_b32_e32 v40, 0, v40, vcc                         // 000000008690: 00505080
	v_add_u32_e32 v73, 0x81, v72                               // 000000008694: 689290FF 00000081
	v_cmp_lt_u32_e32 vcc, v73, v105                            // 00000000869C: 7D92D349
	v_cndmask_b32_e32 v41, 0, v41, vcc                         // 0000000086A0: 00525280
	v_add_u32_e32 v73, 0x82, v72                               // 0000000086A4: 689290FF 00000082
	v_cmp_lt_u32_e32 vcc, v73, v105                            // 0000000086AC: 7D92D349
	v_cndmask_b32_e32 v42, 0, v42, vcc                         // 0000000086B0: 00545480
	v_add_u32_e32 v73, 0x83, v72                               // 0000000086B4: 689290FF 00000083
	v_cmp_lt_u32_e32 vcc, v73, v105                            // 0000000086BC: 7D92D349
	v_cndmask_b32_e32 v43, 0, v43, vcc                         // 0000000086C0: 00565680
	v_add_u32_e32 v73, 0xc0, v72                               // 0000000086C4: 689290FF 000000C0
	v_cmp_lt_u32_e32 vcc, v73, v105                            // 0000000086CC: 7D92D349
	v_cndmask_b32_e32 v44, 0, v44, vcc                         // 0000000086D0: 00585880
	v_add_u32_e32 v73, 0xc1, v72                               // 0000000086D4: 689290FF 000000C1
	v_cmp_lt_u32_e32 vcc, v73, v105                            // 0000000086DC: 7D92D349
	v_cndmask_b32_e32 v45, 0, v45, vcc                         // 0000000086E0: 005A5A80
	v_add_u32_e32 v73, 0xc2, v72                               // 0000000086E4: 689290FF 000000C2
	v_cmp_lt_u32_e32 vcc, v73, v105                            // 0000000086EC: 7D92D349
	v_cndmask_b32_e32 v46, 0, v46, vcc                         // 0000000086F0: 005C5C80
	v_add_u32_e32 v73, 0xc3, v72                               // 0000000086F4: 689290FF 000000C3
	v_cmp_lt_u32_e32 vcc, v73, v105                            // 0000000086FC: 7D92D349
	v_cndmask_b32_e32 v47, 0, v47, vcc                         // 000000008700: 005E5E80
	v_mov_b32_e32 v92, 0x358637bd                              // 000000008704: 7EB802FF 358637BD
	v_max3_f32 v92, |v32|, |v33|, v92                          // 00000000870C: D1D3035C 05724320
	v_max3_f32 v92, |v34|, |v35|, v92                          // 000000008714: D1D3035C 05724722
	v_max3_f32 v92, |v36|, |v37|, v92                          // 00000000871C: D1D3035C 05724B24
	v_max3_f32 v92, |v38|, |v39|, v92                          // 000000008724: D1D3035C 05724F26
	v_max3_f32 v92, |v40|, |v41|, v92                          // 00000000872C: D1D3035C 05725328
	v_max3_f32 v92, |v42|, |v43|, v92                          // 000000008734: D1D3035C 0572572A
	v_max3_f32 v92, |v44|, |v45|, v92                          // 00000000873C: D1D3035C 05725B2C
	v_max3_f32 v92, |v46|, |v47|, v92                          // 000000008744: D1D3035C 05725F2E
	ds_write_b32 v128, v92 offset:1280                         // 00000000874C: D81A0500 00005C80
	buffer_load_dword v66, v116, s[20:23], 0 offen             // 000000008754: E0501000 80054274
	v_sub_f32_e32 v94, v96, v97                                // 00000000875C: 04BCC360
	v_cmp_eq_u32_e64 s[98:99], v107, v96                       // 000000008760: D0CA0062 0002C16B
	s_nop 0                                                    // 000000008768: BF800000
	v_cndmask_b32_e64 v94, v94, 0, s[98:99]                    // 00000000876C: D100005E 0189015E
	v_mov_b32_e32 v96, v97                                     // 000000008774: 7EC00361
	v_mul_f32_e32 v94, s46, v94                                // 000000008778: 0ABCBC2E
	v_exp_f32_e32 v94, v94                                     // 00000000877C: 7EBC415E
	s_nop 0                                                    // 000000008780: BF800000
	v_mov_b32_e32 v95, v94                                     // 000000008784: 7EBE035E
	buffer_load_dword v68, v117, s[24:27], 0 offen             // 000000008788: E0501000 80064475
	s_waitcnt lgkmcnt(0)                                       // 000000008790: BF8CC07F
	s_barrier                                                  // 000000008794: BF8A0000
	ds_read_b32 v76, v129 offset:1280                          // 000000008798: D86C0500 4C000081
	ds_read_b32 v77, v129 offset:1344                          // 0000000087A0: D86C0540 4D000081
	ds_read_b32 v78, v129 offset:1408                          // 0000000087A8: D86C0580 4E000081
	ds_read_b32 v79, v129 offset:1472                          // 0000000087B0: D86C05C0 4F000081
	ds_read_b32 v80, v129 offset:1536                          // 0000000087B8: D86C0600 50000081
	ds_read_b32 v81, v129 offset:1600                          // 0000000087C0: D86C0640 51000081
	ds_read_b32 v82, v129 offset:1664                          // 0000000087C8: D86C0680 52000081
	ds_read_b32 v83, v129 offset:1728                          // 0000000087D0: D86C06C0 53000081
	ds_read_b32 v84, v129 offset:1792                          // 0000000087D8: D86C0700 54000081
	ds_read_b32 v85, v129 offset:1856                          // 0000000087E0: D86C0740 55000081
	ds_read_b32 v86, v129 offset:1920                          // 0000000087E8: D86C0780 56000081
	ds_read_b32 v87, v129 offset:1984                          // 0000000087F0: D86C07C0 57000081
	ds_read_b32 v88, v129 offset:2048                          // 0000000087F8: D86C0800 58000081
	ds_read_b32 v89, v129 offset:2112                          // 000000008800: D86C0840 59000081
	ds_read_b32 v90, v129 offset:2176                          // 000000008808: D86C0880 5A000081
	ds_read_b32 v91, v129 offset:2240                          // 000000008810: D86C08C0 5B000081
	buffer_load_dwordx4 a[64:67], v112, s[16:19], 0 offen      // 000000008818: E05C1000 80844070
	v_mul_f32_e32 v98, v94, v98                                // 000000008820: 0AC4C55E
	v_add_f32_e32 v98, v16, v98                                // 000000008824: 02C4C510
	v_add_f32_e32 v98, v17, v98                                // 000000008828: 02C4C511
	v_add_f32_e32 v98, v18, v98                                // 00000000882C: 02C4C512
	v_add_f32_e32 v98, v19, v98                                // 000000008830: 02C4C513
	v_add_f32_e32 v98, v20, v98                                // 000000008834: 02C4C514
	v_add_f32_e32 v98, v21, v98                                // 000000008838: 02C4C515
	v_add_f32_e32 v98, v22, v98                                // 00000000883C: 02C4C516
	v_add_f32_e32 v98, v23, v98                                // 000000008840: 02C4C517
	v_add_f32_e32 v98, v24, v98                                // 000000008844: 02C4C518
	v_add_f32_e32 v98, v25, v98                                // 000000008848: 02C4C519
	v_add_f32_e32 v98, v26, v98                                // 00000000884C: 02C4C51A
	v_add_f32_e32 v98, v27, v98                                // 000000008850: 02C4C51B
	v_add_f32_e32 v98, v28, v98                                // 000000008854: 02C4C51C
	v_add_f32_e32 v98, v29, v98                                // 000000008858: 02C4C51D
	v_add_f32_e32 v98, v30, v98                                // 00000000885C: 02C4C51E
	v_add_f32_e32 v98, v31, v98                                // 000000008860: 02C4C51F
	buffer_load_dwordx4 a[68:71], v113, s[16:19], 0 offen      // 000000008864: E05C1000 80844471
	s_waitcnt lgkmcnt(0)                                       // 00000000886C: BF8CC07F
	v_max3_f32 v92, v76, v77, v92                              // 000000008870: D1D3005C 05729B4C
	v_max3_f32 v92, v78, v79, v92                              // 000000008878: D1D3005C 05729F4E
	v_max3_f32 v92, v80, v81, v92                              // 000000008880: D1D3005C 0572A350
	v_max3_f32 v92, v82, v83, v92                              // 000000008888: D1D3005C 0572A752
	v_max3_f32 v92, v84, v85, v92                              // 000000008890: D1D3005C 0572AB54
	v_max3_f32 v92, v86, v87, v92                              // 000000008898: D1D3005C 0572AF56
	v_max3_f32 v92, v88, v89, v92                              // 0000000088A0: D1D3005C 0572B358
	v_max3_f32 v92, v90, v91, v92                              // 0000000088A8: D1D3005C 0572B75A
	v_rcp_f32_e32 v92, v92                                     // 0000000088B0: 7EB8455C
	s_nop 0                                                    // 0000000088B4: BF800000
	v_mul_f32_e32 v92, 0x43700000, v92                         // 0000000088B8: 0AB8B8FF 43700000
	v_mov_b32_e32 v93, v92                                     // 0000000088C0: 7EBA035C
	v_pk_mul_f32 v[16:17], v[92:93], v[32:33]                  // 0000000088C4: D3B14010 1802415C
	v_pk_mul_f32 v[18:19], v[92:93], v[34:35]                  // 0000000088CC: D3B14012 1802455C
	v_pk_mul_f32 v[20:21], v[92:93], v[36:37]                  // 0000000088D4: D3B14014 1802495C
	v_pk_mul_f32 v[22:23], v[92:93], v[38:39]                  // 0000000088DC: D3B14016 18024D5C
	v_pk_mul_f32 v[24:25], v[92:93], v[40:41]                  // 0000000088E4: D3B14018 1802515C
	v_pk_mul_f32 v[26:27], v[92:93], v[42:43]                  // 0000000088EC: D3B1401A 1802555C
	v_pk_mul_f32 v[28:29], v[92:93], v[44:45]                  // 0000000088F4: D3B1401C 1802595C
	v_pk_mul_f32 v[30:31], v[92:93], v[46:47]                  // 0000000088FC: D3B1401E 18025D5C
	v_cvt_pk_fp8_f32 v16, v16, v17                             // 000000008904: D2A20010 00022310
	v_cvt_pk_fp8_f32 v16, v18, v19 op_sel:[0,0,1]              // 00000000890C: D2A24010 00022712
	v_cvt_pk_fp8_f32 v17, v20, v21                             // 000000008914: D2A20011 00022B14
	v_cvt_pk_fp8_f32 v17, v22, v23 op_sel:[0,0,1]              // 00000000891C: D2A24011 00022F16
	v_cvt_pk_fp8_f32 v18, v24, v25                             // 000000008924: D2A20012 00023318
	v_cvt_pk_fp8_f32 v18, v26, v27 op_sel:[0,0,1]              // 00000000892C: D2A24012 0002371A
	v_cvt_pk_fp8_f32 v19, v28, v29                             // 000000008934: D2A20013 00023B1C
	v_cvt_pk_fp8_f32 v19, v30, v31 op_sel:[0,0,1]              // 00000000893C: D2A24013 00023F1E
	ds_write_b32 v130, v16 offset:2560                         // 000000008944: D81A0A00 00001082
	ds_write_b32 v130, v17 offset:3584                         // 00000000894C: D81A0E00 00001182
	ds_write_b32 v130, v18 offset:4608                         // 000000008954: D81A1200 00001282
	ds_write_b32 v130, v19 offset:5632                         // 00000000895C: D81A1600 00001382
	v_rcp_f32_e32 v70, v92                                     // 000000008964: 7E8C455C
	s_nop 0                                                    // 000000008968: BF800000
	v_mov_b32_e32 v71, v70                                     // 00000000896C: 7E8E0346
	buffer_load_dwordx4 a[72:75], v114, s[16:19], 0 offen      // 000000008970: E05C1000 80844872
	v_pk_add_f32 v[56:57], v[56:57], v[48:49]                  // 000000008978: D3B24038 18026138
	v_pk_add_f32 v[58:59], v[58:59], v[50:51]                  // 000000008980: D3B2403A 1802653A
	v_pk_add_f32 v[60:61], v[60:61], v[52:53]                  // 000000008988: D3B2403C 1802693C
	v_pk_add_f32 v[62:63], v[62:63], v[54:55]                  // 000000008990: D3B2403E 18026D3E
	s_waitcnt lgkmcnt(0)                                       // 000000008998: BF8CC07F
	s_barrier                                                  // 00000000899C: BF8A0000
	ds_read_b128 v[16:19], v131 offset:2560                    // 0000000089A0: D9FE0A00 10000083
	ds_read_b128 v[20:23], v131 offset:3584                    // 0000000089A8: D9FE0E00 14000083
	ds_read_b128 v[24:27], v131 offset:4608                    // 0000000089B0: D9FE1200 18000083
	ds_read_b128 v[28:31], v131 offset:5632                    // 0000000089B8: D9FE1600 1C000083
	buffer_load_dwordx4 a[76:79], v115, s[16:19], 0 offen      // 0000000089C0: E05C1000 80844C73
	s_waitcnt vmcnt(14)                                        // 0000000089C8: BF8C0F7E
	v_lshrrev_b32_e32 v100, 4, v0                              // 0000000089CC: 20C80084
	v_lshlrev_b32_e32 v100, 4, v100                            // 0000000089D0: 24C8C884
	v_add_u32_e32 v72, s64, v100                               // 0000000089D4: 6890C840
	v_add_u32_e32 v72, 4, v72                                  // 0000000089D8: 68909084
	v_sub_i32 v72, v72, s62                                    // 0000000089DC: D29D0048 00007D48
	s_mov_b32 s54, 0                                           // 0000000089E4: BEB60080
	v_add_i32 v73, s54, v72                                    // 0000000089E8: D29C0049 00029036
	v_cmp_lt_i32_e64 vcc, v73, 4                               // 0000000089F0: D0C1006A 00010949
	v_min_u32_e32 v73, 4, v73                                  // 0000000089F8: 1C929284
	v_lshlrev_b32_e32 v73, 3, v73                              // 0000000089FC: 24929283
	v_lshrrev_b32_e64 v74, v73, -1                             // 000000008A00: D110004A 00018349
	v_accvgpr_read_b32 v75, a96                                // 000000008A08: D3D8404B 18000160
	v_cndmask_b32_e32 v75, 0, v75, vcc                         // 000000008A10: 00969680
	v_and_b32_e32 v75, v75, v74                                // 000000008A14: 2696954B
	v_accvgpr_write_b32 a96, v75                               // 000000008A18: D3D94060 1800014B
	v_accvgpr_read_b32 v75, a112                               // 000000008A20: D3D8404B 18000170
	v_cndmask_b32_e32 v75, 0, v75, vcc                         // 000000008A28: 00969680
	v_and_b32_e32 v75, v75, v74                                // 000000008A2C: 2696954B
	v_accvgpr_write_b32 a112, v75                              // 000000008A30: D3D94070 1800014B
	s_mov_b32 s54, 4                                           // 000000008A38: BEB60084
	v_add_i32 v73, s54, v72                                    // 000000008A3C: D29C0049 00029036
	v_cmp_lt_i32_e64 vcc, v73, 4                               // 000000008A44: D0C1006A 00010949
	v_min_u32_e32 v73, 4, v73                                  // 000000008A4C: 1C929284
	v_lshlrev_b32_e32 v73, 3, v73                              // 000000008A50: 24929283
	v_lshrrev_b32_e64 v74, v73, -1                             // 000000008A54: D110004A 00018349
	v_accvgpr_read_b32 v75, a97                                // 000000008A5C: D3D8404B 18000161
	v_cndmask_b32_e32 v75, 0, v75, vcc                         // 000000008A64: 00969680
	v_and_b32_e32 v75, v75, v74                                // 000000008A68: 2696954B
	v_accvgpr_write_b32 a97, v75                               // 000000008A6C: D3D94061 1800014B
	v_accvgpr_read_b32 v75, a113                               // 000000008A74: D3D8404B 18000171
	v_cndmask_b32_e32 v75, 0, v75, vcc                         // 000000008A7C: 00969680
	v_and_b32_e32 v75, v75, v74                                // 000000008A80: 2696954B
	v_accvgpr_write_b32 a113, v75                              // 000000008A84: D3D94071 1800014B
	s_mov_b32 s54, 8                                           // 000000008A8C: BEB60088
	v_add_i32 v73, s54, v72                                    // 000000008A90: D29C0049 00029036
	v_cmp_lt_i32_e64 vcc, v73, 4                               // 000000008A98: D0C1006A 00010949
	v_min_u32_e32 v73, 4, v73                                  // 000000008AA0: 1C929284
	v_lshlrev_b32_e32 v73, 3, v73                              // 000000008AA4: 24929283
	v_lshrrev_b32_e64 v74, v73, -1                             // 000000008AA8: D110004A 00018349
	v_accvgpr_read_b32 v75, a98                                // 000000008AB0: D3D8404B 18000162
	v_cndmask_b32_e32 v75, 0, v75, vcc                         // 000000008AB8: 00969680
	v_and_b32_e32 v75, v75, v74                                // 000000008ABC: 2696954B
	v_accvgpr_write_b32 a98, v75                               // 000000008AC0: D3D94062 1800014B
	v_accvgpr_read_b32 v75, a114                               // 000000008AC8: D3D8404B 18000172
	v_cndmask_b32_e32 v75, 0, v75, vcc                         // 000000008AD0: 00969680
	v_and_b32_e32 v75, v75, v74                                // 000000008AD4: 2696954B
	v_accvgpr_write_b32 a114, v75                              // 000000008AD8: D3D94072 1800014B
	s_mov_b32 s54, 12                                          // 000000008AE0: BEB6008C
	v_add_i32 v73, s54, v72                                    // 000000008AE4: D29C0049 00029036
	v_cmp_lt_i32_e64 vcc, v73, 4                               // 000000008AEC: D0C1006A 00010949
	v_min_u32_e32 v73, 4, v73                                  // 000000008AF4: 1C929284
	v_lshlrev_b32_e32 v73, 3, v73                              // 000000008AF8: 24929283
	v_lshrrev_b32_e64 v74, v73, -1                             // 000000008AFC: D110004A 00018349
	v_accvgpr_read_b32 v75, a99                                // 000000008B04: D3D8404B 18000163
	v_cndmask_b32_e32 v75, 0, v75, vcc                         // 000000008B0C: 00969680
	v_and_b32_e32 v75, v75, v74                                // 000000008B10: 2696954B
	v_accvgpr_write_b32 a99, v75                               // 000000008B14: D3D94063 1800014B
	v_accvgpr_read_b32 v75, a115                               // 000000008B1C: D3D8404B 18000173
	v_cndmask_b32_e32 v75, 0, v75, vcc                         // 000000008B24: 00969680
	v_and_b32_e32 v75, v75, v74                                // 000000008B28: 2696954B
	v_accvgpr_write_b32 a115, v75                              // 000000008B2C: D3D94073 1800014B
	s_mov_b32 s54, 64                                          // 000000008B34: BEB600C0
	v_add_i32 v73, s54, v72                                    // 000000008B38: D29C0049 00029036
	v_cmp_lt_i32_e64 vcc, v73, 4                               // 000000008B40: D0C1006A 00010949
	v_min_u32_e32 v73, 4, v73                                  // 000000008B48: 1C929284
	v_lshlrev_b32_e32 v73, 3, v73                              // 000000008B4C: 24929283
	v_lshrrev_b32_e64 v74, v73, -1                             // 000000008B50: D110004A 00018349
	v_accvgpr_read_b32 v75, a100                               // 000000008B58: D3D8404B 18000164
	v_cndmask_b32_e32 v75, 0, v75, vcc                         // 000000008B60: 00969680
	v_and_b32_e32 v75, v75, v74                                // 000000008B64: 2696954B
	v_accvgpr_write_b32 a100, v75                              // 000000008B68: D3D94064 1800014B
	v_accvgpr_read_b32 v75, a116                               // 000000008B70: D3D8404B 18000174
	v_cndmask_b32_e32 v75, 0, v75, vcc                         // 000000008B78: 00969680
	v_and_b32_e32 v75, v75, v74                                // 000000008B7C: 2696954B
	v_accvgpr_write_b32 a116, v75                              // 000000008B80: D3D94074 1800014B
	s_mov_b32 s54, 0x44                                        // 000000008B88: BEB600FF 00000044
	v_add_i32 v73, s54, v72                                    // 000000008B90: D29C0049 00029036
	v_cmp_lt_i32_e64 vcc, v73, 4                               // 000000008B98: D0C1006A 00010949
	v_min_u32_e32 v73, 4, v73                                  // 000000008BA0: 1C929284
	v_lshlrev_b32_e32 v73, 3, v73                              // 000000008BA4: 24929283
	v_lshrrev_b32_e64 v74, v73, -1                             // 000000008BA8: D110004A 00018349
	v_accvgpr_read_b32 v75, a101                               // 000000008BB0: D3D8404B 18000165
	v_cndmask_b32_e32 v75, 0, v75, vcc                         // 000000008BB8: 00969680
	v_and_b32_e32 v75, v75, v74                                // 000000008BBC: 2696954B
	v_accvgpr_write_b32 a101, v75                              // 000000008BC0: D3D94065 1800014B
	v_accvgpr_read_b32 v75, a117                               // 000000008BC8: D3D8404B 18000175
	v_cndmask_b32_e32 v75, 0, v75, vcc                         // 000000008BD0: 00969680
	v_and_b32_e32 v75, v75, v74                                // 000000008BD4: 2696954B
	v_accvgpr_write_b32 a117, v75                              // 000000008BD8: D3D94075 1800014B
	s_mov_b32 s54, 0x48                                        // 000000008BE0: BEB600FF 00000048
	v_add_i32 v73, s54, v72                                    // 000000008BE8: D29C0049 00029036
	v_cmp_lt_i32_e64 vcc, v73, 4                               // 000000008BF0: D0C1006A 00010949
	v_min_u32_e32 v73, 4, v73                                  // 000000008BF8: 1C929284
	v_lshlrev_b32_e32 v73, 3, v73                              // 000000008BFC: 24929283
	v_lshrrev_b32_e64 v74, v73, -1                             // 000000008C00: D110004A 00018349
	v_accvgpr_read_b32 v75, a102                               // 000000008C08: D3D8404B 18000166
	v_cndmask_b32_e32 v75, 0, v75, vcc                         // 000000008C10: 00969680
	v_and_b32_e32 v75, v75, v74                                // 000000008C14: 2696954B
	v_accvgpr_write_b32 a102, v75                              // 000000008C18: D3D94066 1800014B
	v_accvgpr_read_b32 v75, a118                               // 000000008C20: D3D8404B 18000176
	v_cndmask_b32_e32 v75, 0, v75, vcc                         // 000000008C28: 00969680
	v_and_b32_e32 v75, v75, v74                                // 000000008C2C: 2696954B
	v_accvgpr_write_b32 a118, v75                              // 000000008C30: D3D94076 1800014B
	s_mov_b32 s54, 0x4c                                        // 000000008C38: BEB600FF 0000004C
	v_add_i32 v73, s54, v72                                    // 000000008C40: D29C0049 00029036
	v_cmp_lt_i32_e64 vcc, v73, 4                               // 000000008C48: D0C1006A 00010949
	v_min_u32_e32 v73, 4, v73                                  // 000000008C50: 1C929284
	v_lshlrev_b32_e32 v73, 3, v73                              // 000000008C54: 24929283
	v_lshrrev_b32_e64 v74, v73, -1                             // 000000008C58: D110004A 00018349
	v_accvgpr_read_b32 v75, a103                               // 000000008C60: D3D8404B 18000167
	v_cndmask_b32_e32 v75, 0, v75, vcc                         // 000000008C68: 00969680
	v_and_b32_e32 v75, v75, v74                                // 000000008C6C: 2696954B
	v_accvgpr_write_b32 a103, v75                              // 000000008C70: D3D94067 1800014B
	v_accvgpr_read_b32 v75, a119                               // 000000008C78: D3D8404B 18000177
	v_cndmask_b32_e32 v75, 0, v75, vcc                         // 000000008C80: 00969680
	v_and_b32_e32 v75, v75, v74                                // 000000008C84: 2696954B
	v_accvgpr_write_b32 a119, v75                              // 000000008C88: D3D94077 1800014B
	s_mov_b32 s54, 0x80                                        // 000000008C90: BEB600FF 00000080
	v_add_i32 v73, s54, v72                                    // 000000008C98: D29C0049 00029036
	v_cmp_lt_i32_e64 vcc, v73, 4                               // 000000008CA0: D0C1006A 00010949
	v_min_u32_e32 v73, 4, v73                                  // 000000008CA8: 1C929284
	v_lshlrev_b32_e32 v73, 3, v73                              // 000000008CAC: 24929283
	v_lshrrev_b32_e64 v74, v73, -1                             // 000000008CB0: D110004A 00018349
	v_accvgpr_read_b32 v75, a104                               // 000000008CB8: D3D8404B 18000168
	v_cndmask_b32_e32 v75, 0, v75, vcc                         // 000000008CC0: 00969680
	v_and_b32_e32 v75, v75, v74                                // 000000008CC4: 2696954B
	v_accvgpr_write_b32 a104, v75                              // 000000008CC8: D3D94068 1800014B
	v_accvgpr_read_b32 v75, a120                               // 000000008CD0: D3D8404B 18000178
	v_cndmask_b32_e32 v75, 0, v75, vcc                         // 000000008CD8: 00969680
	v_and_b32_e32 v75, v75, v74                                // 000000008CDC: 2696954B
	v_accvgpr_write_b32 a120, v75                              // 000000008CE0: D3D94078 1800014B
	s_mov_b32 s54, 0x84                                        // 000000008CE8: BEB600FF 00000084
	v_add_i32 v73, s54, v72                                    // 000000008CF0: D29C0049 00029036
	v_cmp_lt_i32_e64 vcc, v73, 4                               // 000000008CF8: D0C1006A 00010949
	v_min_u32_e32 v73, 4, v73                                  // 000000008D00: 1C929284
	v_lshlrev_b32_e32 v73, 3, v73                              // 000000008D04: 24929283
	v_lshrrev_b32_e64 v74, v73, -1                             // 000000008D08: D110004A 00018349
	v_accvgpr_read_b32 v75, a105                               // 000000008D10: D3D8404B 18000169
	v_cndmask_b32_e32 v75, 0, v75, vcc                         // 000000008D18: 00969680
	v_and_b32_e32 v75, v75, v74                                // 000000008D1C: 2696954B
	v_accvgpr_write_b32 a105, v75                              // 000000008D20: D3D94069 1800014B
	v_accvgpr_read_b32 v75, a121                               // 000000008D28: D3D8404B 18000179
	v_cndmask_b32_e32 v75, 0, v75, vcc                         // 000000008D30: 00969680
	v_and_b32_e32 v75, v75, v74                                // 000000008D34: 2696954B
	v_accvgpr_write_b32 a121, v75                              // 000000008D38: D3D94079 1800014B
	s_mov_b32 s54, 0x88                                        // 000000008D40: BEB600FF 00000088
	v_add_i32 v73, s54, v72                                    // 000000008D48: D29C0049 00029036
	v_cmp_lt_i32_e64 vcc, v73, 4                               // 000000008D50: D0C1006A 00010949
	v_min_u32_e32 v73, 4, v73                                  // 000000008D58: 1C929284
	v_lshlrev_b32_e32 v73, 3, v73                              // 000000008D5C: 24929283
	v_lshrrev_b32_e64 v74, v73, -1                             // 000000008D60: D110004A 00018349
	v_accvgpr_read_b32 v75, a106                               // 000000008D68: D3D8404B 1800016A
	v_cndmask_b32_e32 v75, 0, v75, vcc                         // 000000008D70: 00969680
	v_and_b32_e32 v75, v75, v74                                // 000000008D74: 2696954B
	v_accvgpr_write_b32 a106, v75                              // 000000008D78: D3D9406A 1800014B
	v_accvgpr_read_b32 v75, a122                               // 000000008D80: D3D8404B 1800017A
	v_cndmask_b32_e32 v75, 0, v75, vcc                         // 000000008D88: 00969680
	v_and_b32_e32 v75, v75, v74                                // 000000008D8C: 2696954B
	v_accvgpr_write_b32 a122, v75                              // 000000008D90: D3D9407A 1800014B
	s_mov_b32 s54, 0x8c                                        // 000000008D98: BEB600FF 0000008C
	v_add_i32 v73, s54, v72                                    // 000000008DA0: D29C0049 00029036
	v_cmp_lt_i32_e64 vcc, v73, 4                               // 000000008DA8: D0C1006A 00010949
	v_min_u32_e32 v73, 4, v73                                  // 000000008DB0: 1C929284
	v_lshlrev_b32_e32 v73, 3, v73                              // 000000008DB4: 24929283
	v_lshrrev_b32_e64 v74, v73, -1                             // 000000008DB8: D110004A 00018349
	v_accvgpr_read_b32 v75, a107                               // 000000008DC0: D3D8404B 1800016B
	v_cndmask_b32_e32 v75, 0, v75, vcc                         // 000000008DC8: 00969680
	v_and_b32_e32 v75, v75, v74                                // 000000008DCC: 2696954B
	v_accvgpr_write_b32 a107, v75                              // 000000008DD0: D3D9406B 1800014B
	v_accvgpr_read_b32 v75, a123                               // 000000008DD8: D3D8404B 1800017B
	v_cndmask_b32_e32 v75, 0, v75, vcc                         // 000000008DE0: 00969680
	v_and_b32_e32 v75, v75, v74                                // 000000008DE4: 2696954B
	v_accvgpr_write_b32 a123, v75                              // 000000008DE8: D3D9407B 1800014B
	s_mov_b32 s54, 0xc0                                        // 000000008DF0: BEB600FF 000000C0
	v_add_i32 v73, s54, v72                                    // 000000008DF8: D29C0049 00029036
	v_cmp_lt_i32_e64 vcc, v73, 4                               // 000000008E00: D0C1006A 00010949
	v_min_u32_e32 v73, 4, v73                                  // 000000008E08: 1C929284
	v_lshlrev_b32_e32 v73, 3, v73                              // 000000008E0C: 24929283
	v_lshrrev_b32_e64 v74, v73, -1                             // 000000008E10: D110004A 00018349
	v_accvgpr_read_b32 v75, a108                               // 000000008E18: D3D8404B 1800016C
	v_cndmask_b32_e32 v75, 0, v75, vcc                         // 000000008E20: 00969680
	v_and_b32_e32 v75, v75, v74                                // 000000008E24: 2696954B
	v_accvgpr_write_b32 a108, v75                              // 000000008E28: D3D9406C 1800014B
	v_accvgpr_read_b32 v75, a124                               // 000000008E30: D3D8404B 1800017C
	v_cndmask_b32_e32 v75, 0, v75, vcc                         // 000000008E38: 00969680
	v_and_b32_e32 v75, v75, v74                                // 000000008E3C: 2696954B
	v_accvgpr_write_b32 a124, v75                              // 000000008E40: D3D9407C 1800014B
	s_mov_b32 s54, 0xc4                                        // 000000008E48: BEB600FF 000000C4
	v_add_i32 v73, s54, v72                                    // 000000008E50: D29C0049 00029036
	v_cmp_lt_i32_e64 vcc, v73, 4                               // 000000008E58: D0C1006A 00010949
	v_min_u32_e32 v73, 4, v73                                  // 000000008E60: 1C929284
	v_lshlrev_b32_e32 v73, 3, v73                              // 000000008E64: 24929283
	v_lshrrev_b32_e64 v74, v73, -1                             // 000000008E68: D110004A 00018349
	v_accvgpr_read_b32 v75, a109                               // 000000008E70: D3D8404B 1800016D
	v_cndmask_b32_e32 v75, 0, v75, vcc                         // 000000008E78: 00969680
	v_and_b32_e32 v75, v75, v74                                // 000000008E7C: 2696954B
	v_accvgpr_write_b32 a109, v75                              // 000000008E80: D3D9406D 1800014B
	v_accvgpr_read_b32 v75, a125                               // 000000008E88: D3D8404B 1800017D
	v_cndmask_b32_e32 v75, 0, v75, vcc                         // 000000008E90: 00969680
	v_and_b32_e32 v75, v75, v74                                // 000000008E94: 2696954B
	v_accvgpr_write_b32 a125, v75                              // 000000008E98: D3D9407D 1800014B
	s_mov_b32 s54, 0xc8                                        // 000000008EA0: BEB600FF 000000C8
	v_add_i32 v73, s54, v72                                    // 000000008EA8: D29C0049 00029036
	v_cmp_lt_i32_e64 vcc, v73, 4                               // 000000008EB0: D0C1006A 00010949
	v_min_u32_e32 v73, 4, v73                                  // 000000008EB8: 1C929284
	v_lshlrev_b32_e32 v73, 3, v73                              // 000000008EBC: 24929283
	v_lshrrev_b32_e64 v74, v73, -1                             // 000000008EC0: D110004A 00018349
	v_accvgpr_read_b32 v75, a110                               // 000000008EC8: D3D8404B 1800016E
	v_cndmask_b32_e32 v75, 0, v75, vcc                         // 000000008ED0: 00969680
	v_and_b32_e32 v75, v75, v74                                // 000000008ED4: 2696954B
	v_accvgpr_write_b32 a110, v75                              // 000000008ED8: D3D9406E 1800014B
	v_accvgpr_read_b32 v75, a126                               // 000000008EE0: D3D8404B 1800017E
	v_cndmask_b32_e32 v75, 0, v75, vcc                         // 000000008EE8: 00969680
	v_and_b32_e32 v75, v75, v74                                // 000000008EEC: 2696954B
	v_accvgpr_write_b32 a126, v75                              // 000000008EF0: D3D9407E 1800014B
	s_mov_b32 s54, 0xcc                                        // 000000008EF8: BEB600FF 000000CC
	v_add_i32 v73, s54, v72                                    // 000000008F00: D29C0049 00029036
	v_cmp_lt_i32_e64 vcc, v73, 4                               // 000000008F08: D0C1006A 00010949
	v_min_u32_e32 v73, 4, v73                                  // 000000008F10: 1C929284
	v_lshlrev_b32_e32 v73, 3, v73                              // 000000008F14: 24929283
	v_lshrrev_b32_e64 v74, v73, -1                             // 000000008F18: D110004A 00018349
	v_accvgpr_read_b32 v75, a111                               // 000000008F20: D3D8404B 1800016F
	v_cndmask_b32_e32 v75, 0, v75, vcc                         // 000000008F28: 00969680
	v_and_b32_e32 v75, v75, v74                                // 000000008F2C: 2696954B
	v_accvgpr_write_b32 a111, v75                              // 000000008F30: D3D9406F 1800014B
	v_accvgpr_read_b32 v75, a127                               // 000000008F38: D3D8404B 1800017F
	v_cndmask_b32_e32 v75, 0, v75, vcc                         // 000000008F40: 00969680
	v_and_b32_e32 v75, v75, v74                                // 000000008F44: 2696954B
	v_accvgpr_write_b32 a127, v75                              // 000000008F48: D3D9407F 1800014B
	s_waitcnt lgkmcnt(3)                                       // 000000008F50: BF8CC37F
	v_mfma_f32_16x16x32_fp8_fp8 v[48:51], a[96:97], v[16:17], 0// 000000008F54: D3F30030 0A022160
	v_mfma_f32_16x16x32_fp8_fp8 v[52:55], a[112:113], v[16:17], 0// 000000008F5C: D3F30034 0A022170
	v_mfma_f32_16x16x32_fp8_fp8 v[48:51], a[98:99], v[18:19], v[48:51]// 000000008F64: D3F30030 0CC22562
	buffer_load_dwordx4 a[80:83], v112, s[16:19], 0 offen offset:1024// 000000008F6C: E05C1400 80845070
	v_mfma_f32_16x16x32_fp8_fp8 v[52:55], a[114:115], v[18:19], v[52:55]// 000000008F74: D3F30034 0CD22572
	s_waitcnt lgkmcnt(2)                                       // 000000008F7C: BF8CC27F
	v_mfma_f32_16x16x32_fp8_fp8 v[48:51], a[100:101], v[20:21], v[48:51]// 000000008F80: D3F30030 0CC22964
	v_mfma_f32_16x16x32_fp8_fp8 v[52:55], a[116:117], v[20:21], v[52:55]// 000000008F88: D3F30034 0CD22974
	v_mfma_f32_16x16x32_fp8_fp8 v[48:51], a[102:103], v[22:23], v[48:51]// 000000008F90: D3F30030 0CC22D66
	buffer_load_dwordx4 a[84:87], v113, s[16:19], 0 offen offset:1024// 000000008F98: E05C1400 80845471
	v_mfma_f32_16x16x32_fp8_fp8 v[52:55], a[118:119], v[22:23], v[52:55]// 000000008FA0: D3F30034 0CD22D76
	s_waitcnt lgkmcnt(1)                                       // 000000008FA8: BF8CC17F
	v_mfma_f32_16x16x32_fp8_fp8 v[48:51], a[104:105], v[24:25], v[48:51]// 000000008FAC: D3F30030 0CC23168
	v_mfma_f32_16x16x32_fp8_fp8 v[52:55], a[120:121], v[24:25], v[52:55]// 000000008FB4: D3F30034 0CD23178
	v_mfma_f32_16x16x32_fp8_fp8 v[48:51], a[106:107], v[26:27], v[48:51]// 000000008FBC: D3F30030 0CC2356A
	buffer_load_dwordx4 a[88:91], v114, s[16:19], 0 offen offset:1024// 000000008FC4: E05C1400 80845872
	v_mfma_f32_16x16x32_fp8_fp8 v[52:55], a[122:123], v[26:27], v[52:55]// 000000008FCC: D3F30034 0CD2357A
	s_waitcnt lgkmcnt(0)                                       // 000000008FD4: BF8CC07F
	v_mfma_f32_16x16x32_fp8_fp8 v[48:51], a[108:109], v[28:29], v[48:51]// 000000008FD8: D3F30030 0CC2396C
	v_mfma_f32_16x16x32_fp8_fp8 v[52:55], a[124:125], v[28:29], v[52:55]// 000000008FE0: D3F30034 0CD2397C
	v_mfma_f32_16x16x32_fp8_fp8 v[48:51], a[110:111], v[30:31], v[48:51]// 000000008FE8: D3F30030 0CC23D6E
	buffer_load_dwordx4 a[92:95], v115, s[16:19], 0 offen offset:1024// 000000008FF0: E05C1400 80845C73
	v_mfma_f32_16x16x32_fp8_fp8 v[52:55], a[126:127], v[30:31], v[52:55]// 000000008FF8: D3F30034 0CD23D7E
	s_addk_i32 s64, 0x100                                      // 000000009000: B7400100

0000000000009004 <label_1A01>:
	s_cmp_lt_i32 s64, s62                                      // 000000009004: BF043E40
	s_cbranch_scc0 label_21EB                                  // 000000009008: BF8407E8
	s_waitcnt vmcnt(10)                                        // 00000000900C: BF8C0F7A
	v_mfma_f32_16x16x32_fp8_fp8 v[16:19], a[0:1], v[8:9], 0    // 000000009010: D3F30010 0A021100
	s_add_u32 s12, s86, s69                                    // 000000009018: 800C4556
	s_addc_u32 s13, s87, 0                                     // 00000000901C: 820D8057
	v_mfma_f32_16x16x32_fp8_fp8 v[16:19], a[2:3], v[10:11], v[16:19]// 000000009020: D3F30010 0C421502
	s_add_u32 s16, s88, s70                                    // 000000009028: 80104658
	s_addc_u32 s17, s89, 0                                     // 00000000902C: 82118059
	v_mfma_f32_16x16x32_fp8_fp8 v[16:19], a[4:5], v[12:13], v[16:19]// 000000009030: D3F30010 0C421904
	buffer_load_dwordx4 a[32:35], v110, s[12:15], 0 offen      // 000000009038: E05C1000 8083206E
	v_mfma_f32_16x16x32_fp8_fp8 v[16:19], a[6:7], v[14:15], v[16:19]// 000000009040: D3F30010 0C421D06
	s_add_u32 s20, s90, s71                                    // 000000009048: 8014475A
	s_addc_u32 s21, s91, 0                                     // 00000000904C: 8215805B
	v_mfma_f32_16x16x32_fp8_fp8 v[20:23], a[8:9], v[8:9], 0    // 000000009050: D3F30014 0A021108
	s_add_u32 s24, s92, s71                                    // 000000009058: 8018475C
	s_addc_u32 s25, s93, 0                                     // 00000000905C: 8219805D
	v_mfma_f32_16x16x32_fp8_fp8 v[20:23], a[10:11], v[10:11], v[20:23]// 000000009060: D3F30014 0C52150A
	s_mul_i32 s69, s59, s50                                    // 000000009068: 9245323B
	s_mul_i32 s71, s59, s66                                    // 00000000906C: 9247423B
	v_mfma_f32_16x16x32_fp8_fp8 v[20:23], a[12:13], v[12:13], v[20:23]// 000000009070: D3F30014 0C52190C
	buffer_load_dwordx4 a[36:39], v111, s[12:15], 0 offen      // 000000009078: E05C1000 8083246F
	v_mfma_f32_16x16x32_fp8_fp8 v[20:23], a[14:15], v[14:15], v[20:23]// 000000009080: D3F30014 0C521D0E
	s_mul_i32 s54, s78, s51                                    // 000000009088: 9236334E
	s_add_u32 s69, s69, s54                                    // 00000000908C: 80453645
	v_mfma_f32_16x16x32_fp8_fp8 v[24:27], a[16:17], v[8:9], 0  // 000000009090: D3F30018 0A021110
	s_mov_b32 s70, s69                                         // 000000009098: BEC60045
	v_mfma_f32_16x16x32_fp8_fp8 v[24:27], a[18:19], v[10:11], v[24:27]// 00000000909C: D3F30018 0C621512
	s_mul_i32 s54, s78, s100                                   // 0000000090A4: 9236644E
	s_add_u32 s71, s71, s54                                    // 0000000090A8: 80473647
	v_mfma_f32_16x16x32_fp8_fp8 v[24:27], a[20:21], v[12:13], v[24:27]// 0000000090AC: D3F30018 0C621914
	buffer_load_dwordx4 a[40:43], v110, s[12:15], 0 offen offset:1024// 0000000090B4: E05C1400 8083286E
	v_mfma_f32_16x16x32_fp8_fp8 v[24:27], a[22:23], v[14:15], v[24:27]// 0000000090BC: D3F30018 0C621D16
	v_mfma_f32_16x16x32_fp8_fp8 v[28:31], a[24:25], v[8:9], 0  // 0000000090C4: D3F3001C 0A021118
	v_mfma_f32_16x16x32_fp8_fp8 v[28:31], a[26:27], v[10:11], v[28:31]// 0000000090CC: D3F3001C 0C72151A
	v_mfma_f32_16x16x32_fp8_fp8 v[28:31], a[28:29], v[12:13], v[28:31]// 0000000090D4: D3F3001C 0C72191C
	buffer_load_dwordx4 a[44:47], v111, s[12:15], 0 offen offset:1024// 0000000090DC: E05C1400 80832C6F
	v_mfma_f32_16x16x32_fp8_fp8 v[28:31], a[30:31], v[14:15], v[28:31]// 0000000090E4: D3F3001C 0C721D1E
	s_waitcnt vmcnt(12)                                        // 0000000090EC: BF8C0F7C
	v_pk_mul_f32 v[16:17], v[64:65], v[16:17]                  // 0000000090F0: D3B14010 18022140
	v_pk_mul_f32 v[18:19], v[64:65], v[18:19]                  // 0000000090F8: D3B14012 18022540
	v_mul_f32_dpp v16, v66, v16 row_newbcast:0 row_mask:0xf bank_mask:0xf// 000000009100: 0A2020FA FF015042
	v_mul_f32_dpp v17, v66, v17 row_newbcast:1 row_mask:0xf bank_mask:0xf// 000000009108: 0A2222FA FF015142
	v_mul_f32_dpp v18, v66, v18 row_newbcast:2 row_mask:0xf bank_mask:0xf// 000000009110: 0A2424FA FF015242
	v_mul_f32_dpp v19, v66, v19 row_newbcast:3 row_mask:0xf bank_mask:0xf// 000000009118: 0A2626FA FF015342
	v_pk_mul_f32 v[20:21], v[64:65], v[20:21]                  // 000000009120: D3B14014 18022940
	v_pk_mul_f32 v[22:23], v[64:65], v[22:23]                  // 000000009128: D3B14016 18022D40
	v_mul_f32_dpp v20, v66, v20 row_newbcast:4 row_mask:0xf bank_mask:0xf// 000000009130: 0A2828FA FF015442
	v_mul_f32_dpp v21, v66, v21 row_newbcast:5 row_mask:0xf bank_mask:0xf// 000000009138: 0A2A2AFA FF015542
	v_mul_f32_dpp v22, v66, v22 row_newbcast:6 row_mask:0xf bank_mask:0xf// 000000009140: 0A2C2CFA FF015642
	v_mul_f32_dpp v23, v66, v23 row_newbcast:7 row_mask:0xf bank_mask:0xf// 000000009148: 0A2E2EFA FF015742
	v_pk_mul_f32 v[24:25], v[64:65], v[24:25]                  // 000000009150: D3B14018 18023140
	v_pk_mul_f32 v[26:27], v[64:65], v[26:27]                  // 000000009158: D3B1401A 18023540
	v_mul_f32_dpp v24, v66, v24 row_newbcast:8 row_mask:0xf bank_mask:0xf// 000000009160: 0A3030FA FF015842
	v_mul_f32_dpp v25, v66, v25 row_newbcast:9 row_mask:0xf bank_mask:0xf// 000000009168: 0A3232FA FF015942
	v_mul_f32_dpp v26, v66, v26 row_newbcast:10 row_mask:0xf bank_mask:0xf// 000000009170: 0A3434FA FF015A42
	v_mul_f32_dpp v27, v66, v27 row_newbcast:11 row_mask:0xf bank_mask:0xf// 000000009178: 0A3636FA FF015B42
	v_pk_mul_f32 v[28:29], v[64:65], v[28:29]                  // 000000009180: D3B1401C 18023940
	v_pk_mul_f32 v[30:31], v[64:65], v[30:31]                  // 000000009188: D3B1401E 18023D40
	v_mul_f32_dpp v28, v66, v28 row_newbcast:12 row_mask:0xf bank_mask:0xf// 000000009190: 0A3838FA FF015C42
	v_mul_f32_dpp v29, v66, v29 row_newbcast:13 row_mask:0xf bank_mask:0xf// 000000009198: 0A3A3AFA FF015D42
	v_mul_f32_dpp v30, v66, v30 row_newbcast:14 row_mask:0xf bank_mask:0xf// 0000000091A0: 0A3C3CFA FF015E42
	v_mul_f32_dpp v31, v66, v31 row_newbcast:15 row_mask:0xf bank_mask:0xf// 0000000091A8: 0A3E3EFA FF015F42
	buffer_load_dwordx4 a[48:51], v110, s[12:15], 0 offen offset:2048// 0000000091B0: E05C1800 8083306E
	v_add_u32_e32 v72, s64, v106                               // 0000000091B8: 6890D440
	v_add_u32_e32 v73, 0, v72                                  // 0000000091BC: 68929080
	v_cmp_lt_u32_e64 s[98:99], v73, v105                       // 0000000091C0: D0C90062 0002D349
	s_nop 0                                                    // 0000000091C8: BF800000
	v_cndmask_b32_e64 v16, v107, v16, s[98:99]                 // 0000000091CC: D1000010 018A216B
	v_add_u32_e32 v73, 1, v72                                  // 0000000091D4: 68929081
	v_cmp_lt_u32_e64 s[98:99], v73, v105                       // 0000000091D8: D0C90062 0002D349
	s_nop 0                                                    // 0000000091E0: BF800000
	v_cndmask_b32_e64 v17, v107, v17, s[98:99]                 // 0000000091E4: D1000011 018A236B
	v_add_u32_e32 v73, 2, v72                                  // 0000000091EC: 68929082
	v_cmp_lt_u32_e64 s[98:99], v73, v105                       // 0000000091F0: D0C90062 0002D349
	s_nop 0                                                    // 0000000091F8: BF800000
	v_cndmask_b32_e64 v18, v107, v18, s[98:99]                 // 0000000091FC: D1000012 018A256B
	v_add_u32_e32 v73, 3, v72                                  // 000000009204: 68929083
	v_cmp_lt_u32_e64 s[98:99], v73, v105                       // 000000009208: D0C90062 0002D349
	s_nop 0                                                    // 000000009210: BF800000
	v_cndmask_b32_e64 v19, v107, v19, s[98:99]                 // 000000009214: D1000013 018A276B
	v_add_u32_e32 v73, 64, v72                                 // 00000000921C: 689290C0
	v_cmp_lt_u32_e64 s[98:99], v73, v105                       // 000000009220: D0C90062 0002D349
	s_nop 0                                                    // 000000009228: BF800000
	v_cndmask_b32_e64 v20, v107, v20, s[98:99]                 // 00000000922C: D1000014 018A296B
	v_add_u32_e32 v73, 0x41, v72                               // 000000009234: 689290FF 00000041
	v_cmp_lt_u32_e64 s[98:99], v73, v105                       // 00000000923C: D0C90062 0002D349
	s_nop 0                                                    // 000000009244: BF800000
	v_cndmask_b32_e64 v21, v107, v21, s[98:99]                 // 000000009248: D1000015 018A2B6B
	v_add_u32_e32 v73, 0x42, v72                               // 000000009250: 689290FF 00000042
	v_cmp_lt_u32_e64 s[98:99], v73, v105                       // 000000009258: D0C90062 0002D349
	s_nop 0                                                    // 000000009260: BF800000
	v_cndmask_b32_e64 v22, v107, v22, s[98:99]                 // 000000009264: D1000016 018A2D6B
	v_add_u32_e32 v73, 0x43, v72                               // 00000000926C: 689290FF 00000043
	v_cmp_lt_u32_e64 s[98:99], v73, v105                       // 000000009274: D0C90062 0002D349
	s_nop 0                                                    // 00000000927C: BF800000
	v_cndmask_b32_e64 v23, v107, v23, s[98:99]                 // 000000009280: D1000017 018A2F6B
	v_add_u32_e32 v73, 0x80, v72                               // 000000009288: 689290FF 00000080
	v_cmp_lt_u32_e64 s[98:99], v73, v105                       // 000000009290: D0C90062 0002D349
	s_nop 0                                                    // 000000009298: BF800000
	v_cndmask_b32_e64 v24, v107, v24, s[98:99]                 // 00000000929C: D1000018 018A316B
	v_add_u32_e32 v73, 0x81, v72                               // 0000000092A4: 689290FF 00000081
	v_cmp_lt_u32_e64 s[98:99], v73, v105                       // 0000000092AC: D0C90062 0002D349
	s_nop 0                                                    // 0000000092B4: BF800000
	v_cndmask_b32_e64 v25, v107, v25, s[98:99]                 // 0000000092B8: D1000019 018A336B
	v_add_u32_e32 v73, 0x82, v72                               // 0000000092C0: 689290FF 00000082
	v_cmp_lt_u32_e64 s[98:99], v73, v105                       // 0000000092C8: D0C90062 0002D349
	s_nop 0                                                    // 0000000092D0: BF800000
	v_cndmask_b32_e64 v26, v107, v26, s[98:99]                 // 0000000092D4: D100001A 018A356B
	v_add_u32_e32 v73, 0x83, v72                               // 0000000092DC: 689290FF 00000083
	v_cmp_lt_u32_e64 s[98:99], v73, v105                       // 0000000092E4: D0C90062 0002D349
	s_nop 0                                                    // 0000000092EC: BF800000
	v_cndmask_b32_e64 v27, v107, v27, s[98:99]                 // 0000000092F0: D100001B 018A376B
	v_add_u32_e32 v73, 0xc0, v72                               // 0000000092F8: 689290FF 000000C0
	v_cmp_lt_u32_e64 s[98:99], v73, v105                       // 000000009300: D0C90062 0002D349
	s_nop 0                                                    // 000000009308: BF800000
	v_cndmask_b32_e64 v28, v107, v28, s[98:99]                 // 00000000930C: D100001C 018A396B
	v_add_u32_e32 v73, 0xc1, v72                               // 000000009314: 689290FF 000000C1
	v_cmp_lt_u32_e64 s[98:99], v73, v105                       // 00000000931C: D0C90062 0002D349
	s_nop 0                                                    // 000000009324: BF800000
	v_cndmask_b32_e64 v29, v107, v29, s[98:99]                 // 000000009328: D100001D 018A3B6B
	v_add_u32_e32 v73, 0xc2, v72                               // 000000009330: 689290FF 000000C2
	v_cmp_lt_u32_e64 s[98:99], v73, v105                       // 000000009338: D0C90062 0002D349
	s_nop 0                                                    // 000000009340: BF800000
	v_cndmask_b32_e64 v30, v107, v30, s[98:99]                 // 000000009344: D100001E 018A3D6B
	v_add_u32_e32 v73, 0xc3, v72                               // 00000000934C: 689290FF 000000C3
	v_cmp_lt_u32_e64 s[98:99], v73, v105                       // 000000009354: D0C90062 0002D349
	s_nop 0                                                    // 00000000935C: BF800000
	v_cndmask_b32_e64 v31, v107, v31, s[98:99]                 // 000000009360: D100001F 018A3F6B
	v_mov_b32_e32 v92, v16                                     // 000000009368: 7EB80310
	v_max3_f32 v92, v16, v17, v92                              // 00000000936C: D1D3005C 05722310
	v_max3_f32 v92, v18, v19, v92                              // 000000009374: D1D3005C 05722712
	v_max3_f32 v92, v20, v21, v92                              // 00000000937C: D1D3005C 05722B14
	v_max3_f32 v92, v22, v23, v92                              // 000000009384: D1D3005C 05722F16
	v_max3_f32 v92, v24, v25, v92                              // 00000000938C: D1D3005C 05723318
	v_max3_f32 v92, v26, v27, v92                              // 000000009394: D1D3005C 0572371A
	v_max3_f32 v92, v28, v29, v92                              // 00000000939C: D1D3005C 05723B1C
	v_max3_f32 v92, v30, v31, v92                              // 0000000093A4: D1D3005C 05723F1E
	ds_write_b32 v128, v92                                     // 0000000093AC: D81A0000 00005C80
	v_pk_mul_f32 v[56:57], v[94:95], v[56:57]                  // 0000000093B4: D3B14038 1802715E
	v_pk_mul_f32 v[58:59], v[94:95], v[58:59]                  // 0000000093BC: D3B1403A 1802755E
	v_pk_mul_f32 v[60:61], v[94:95], v[60:61]                  // 0000000093C4: D3B1403C 1802795E
	v_pk_mul_f32 v[62:63], v[94:95], v[62:63]                  // 0000000093CC: D3B1403E 18027D5E
	buffer_load_dwordx4 a[52:55], v111, s[12:15], 0 offen offset:2048// 0000000093D4: E05C1800 8083346F
	s_waitcnt lgkmcnt(0)                                       // 0000000093DC: BF8CC07F
	s_barrier                                                  // 0000000093E0: BF8A0000
	ds_read_b32 v76, v129                                      // 0000000093E4: D86C0000 4C000081
	ds_read_b32 v77, v129 offset:64                            // 0000000093EC: D86C0040 4D000081
	ds_read_b32 v78, v129 offset:128                           // 0000000093F4: D86C0080 4E000081
	ds_read_b32 v79, v129 offset:192                           // 0000000093FC: D86C00C0 4F000081
	ds_read_b32 v80, v129 offset:256                           // 000000009404: D86C0100 50000081
	ds_read_b32 v81, v129 offset:320                           // 00000000940C: D86C0140 51000081
	ds_read_b32 v82, v129 offset:384                           // 000000009414: D86C0180 52000081
	ds_read_b32 v83, v129 offset:448                           // 00000000941C: D86C01C0 53000081
	ds_read_b32 v84, v129 offset:512                           // 000000009424: D86C0200 54000081
	ds_read_b32 v85, v129 offset:576                           // 00000000942C: D86C0240 55000081
	ds_read_b32 v86, v129 offset:640                           // 000000009434: D86C0280 56000081
	ds_read_b32 v87, v129 offset:704                           // 00000000943C: D86C02C0 57000081
	ds_read_b32 v88, v129 offset:768                           // 000000009444: D86C0300 58000081
	ds_read_b32 v89, v129 offset:832                           // 00000000944C: D86C0340 59000081
	ds_read_b32 v90, v129 offset:896                           // 000000009454: D86C0380 5A000081
	ds_read_b32 v91, v129 offset:960                           // 00000000945C: D86C03C0 5B000081
	buffer_load_dwordx4 a[60:63], v111, s[12:15], 0 offen offset:3072// 000000009464: E05C1C00 80833C6F
	v_pk_mul_f32 v[48:49], v[70:71], v[48:49]                  // 00000000946C: D3B14030 18026146
	v_pk_mul_f32 v[50:51], v[70:71], v[50:51]                  // 000000009474: D3B14032 18026546
	v_pk_mul_f32 v[52:53], v[70:71], v[52:53]                  // 00000000947C: D3B14034 18026946
	v_pk_mul_f32 v[54:55], v[70:71], v[54:55]                  // 000000009484: D3B14036 18026D46
	buffer_load_dwordx4 a[56:59], v110, s[12:15], 0 offen offset:3072// 00000000948C: E05C1C00 8083386E
	s_waitcnt lgkmcnt(0)                                       // 000000009494: BF8CC07F
	v_max3_f32 v92, v76, v77, v92                              // 000000009498: D1D3005C 05729B4C
	v_max3_f32 v92, v78, v79, v92                              // 0000000094A0: D1D3005C 05729F4E
	v_max3_f32 v92, v80, v81, v92                              // 0000000094A8: D1D3005C 0572A350
	v_max3_f32 v92, v82, v83, v92                              // 0000000094B0: D1D3005C 0572A752
	v_max3_f32 v92, v84, v85, v92                              // 0000000094B8: D1D3005C 0572AB54
	v_max3_f32 v92, v86, v87, v92                              // 0000000094C0: D1D3005C 0572AF56
	v_max3_f32 v92, v88, v89, v92                              // 0000000094C8: D1D3005C 0572B358
	v_max3_f32 v92, v90, v91, v92                              // 0000000094D0: D1D3005C 0572B75A
	v_max_f32_e32 v97, v92, v96                                // 0000000094D8: 16C2C15C
	v_mul_f32_e64 v72, -s46, v97                               // 0000000094DC: D1050048 2002C22E
	v_mov_b32_e32 v73, v72                                     // 0000000094E4: 7E920348
	v_pk_fma_f32 v[16:17], v[16:17], s[46:47], v[72:73]        // 0000000094E8: D3B04010 1D205D10
	v_pk_fma_f32 v[18:19], v[18:19], s[46:47], v[72:73]        // 0000000094F0: D3B04012 1D205D12
	v_exp_f32_e32 v16, v16                                     // 0000000094F8: 7E204110
	v_exp_f32_e32 v17, v17                                     // 0000000094FC: 7E224111
	v_exp_f32_e32 v18, v18                                     // 000000009500: 7E244112
	v_exp_f32_e32 v19, v19                                     // 000000009504: 7E264113
	v_pk_fma_f32 v[20:21], v[20:21], s[46:47], v[72:73]        // 000000009508: D3B04014 1D205D14
	v_pk_fma_f32 v[22:23], v[22:23], s[46:47], v[72:73]        // 000000009510: D3B04016 1D205D16
	v_exp_f32_e32 v20, v20                                     // 000000009518: 7E284114
	v_exp_f32_e32 v21, v21                                     // 00000000951C: 7E2A4115
	v_exp_f32_e32 v22, v22                                     // 000000009520: 7E2C4116
	v_exp_f32_e32 v23, v23                                     // 000000009524: 7E2E4117
	v_pk_fma_f32 v[24:25], v[24:25], s[46:47], v[72:73]        // 000000009528: D3B04018 1D205D18
	v_pk_fma_f32 v[26:27], v[26:27], s[46:47], v[72:73]        // 000000009530: D3B0401A 1D205D1A
	v_exp_f32_e32 v24, v24                                     // 000000009538: 7E304118
	v_exp_f32_e32 v25, v25                                     // 00000000953C: 7E324119
	v_exp_f32_e32 v26, v26                                     // 000000009540: 7E34411A
	v_exp_f32_e32 v27, v27                                     // 000000009544: 7E36411B
	v_pk_fma_f32 v[28:29], v[28:29], s[46:47], v[72:73]        // 000000009548: D3B0401C 1D205D1C
	v_pk_fma_f32 v[30:31], v[30:31], s[46:47], v[72:73]        // 000000009550: D3B0401E 1D205D1E
	v_exp_f32_e32 v28, v28                                     // 000000009558: 7E38411C
	v_exp_f32_e32 v29, v29                                     // 00000000955C: 7E3A411D
	v_exp_f32_e32 v30, v30                                     // 000000009560: 7E3C411E
	v_exp_f32_e32 v31, v31                                     // 000000009564: 7E3E411F
	v_mul_f32_dpp v32, v68, v16 row_newbcast:0 row_mask:0xf bank_mask:0xf// 000000009568: 0A4020FA FF015044
	v_mul_f32_dpp v33, v68, v17 row_newbcast:1 row_mask:0xf bank_mask:0xf// 000000009570: 0A4222FA FF015144
	v_mul_f32_dpp v34, v68, v18 row_newbcast:2 row_mask:0xf bank_mask:0xf// 000000009578: 0A4424FA FF015244
	v_mul_f32_dpp v35, v68, v19 row_newbcast:3 row_mask:0xf bank_mask:0xf// 000000009580: 0A4626FA FF015344
	v_mul_f32_dpp v36, v68, v20 row_newbcast:4 row_mask:0xf bank_mask:0xf// 000000009588: 0A4828FA FF015444
	v_mul_f32_dpp v37, v68, v21 row_newbcast:5 row_mask:0xf bank_mask:0xf// 000000009590: 0A4A2AFA FF015544
	v_mul_f32_dpp v38, v68, v22 row_newbcast:6 row_mask:0xf bank_mask:0xf// 000000009598: 0A4C2CFA FF015644
	v_mul_f32_dpp v39, v68, v23 row_newbcast:7 row_mask:0xf bank_mask:0xf// 0000000095A0: 0A4E2EFA FF015744
	v_mul_f32_dpp v40, v68, v24 row_newbcast:8 row_mask:0xf bank_mask:0xf// 0000000095A8: 0A5030FA FF015844
	v_mul_f32_dpp v41, v68, v25 row_newbcast:9 row_mask:0xf bank_mask:0xf// 0000000095B0: 0A5232FA FF015944
	v_mul_f32_dpp v42, v68, v26 row_newbcast:10 row_mask:0xf bank_mask:0xf// 0000000095B8: 0A5434FA FF015A44
	v_mul_f32_dpp v43, v68, v27 row_newbcast:11 row_mask:0xf bank_mask:0xf// 0000000095C0: 0A5636FA FF015B44
	v_mul_f32_dpp v44, v68, v28 row_newbcast:12 row_mask:0xf bank_mask:0xf// 0000000095C8: 0A5838FA FF015C44
	v_mul_f32_dpp v45, v68, v29 row_newbcast:13 row_mask:0xf bank_mask:0xf// 0000000095D0: 0A5A3AFA FF015D44
	v_mul_f32_dpp v46, v68, v30 row_newbcast:14 row_mask:0xf bank_mask:0xf// 0000000095D8: 0A5C3CFA FF015E44
	v_mul_f32_dpp v47, v68, v31 row_newbcast:15 row_mask:0xf bank_mask:0xf// 0000000095E0: 0A5E3EFA FF015F44
	v_add_u32_e32 v72, s64, v106                               // 0000000095E8: 6890D440
	v_add_u32_e32 v73, 0, v72                                  // 0000000095EC: 68929080
	v_cmp_lt_u32_e32 vcc, v73, v105                            // 0000000095F0: 7D92D349
	v_cndmask_b32_e32 v32, 0, v32, vcc                         // 0000000095F4: 00404080
	v_add_u32_e32 v73, 1, v72                                  // 0000000095F8: 68929081
	v_cmp_lt_u32_e32 vcc, v73, v105                            // 0000000095FC: 7D92D349
	v_cndmask_b32_e32 v33, 0, v33, vcc                         // 000000009600: 00424280
	v_add_u32_e32 v73, 2, v72                                  // 000000009604: 68929082
	v_cmp_lt_u32_e32 vcc, v73, v105                            // 000000009608: 7D92D349
	v_cndmask_b32_e32 v34, 0, v34, vcc                         // 00000000960C: 00444480
	v_add_u32_e32 v73, 3, v72                                  // 000000009610: 68929083
	v_cmp_lt_u32_e32 vcc, v73, v105                            // 000000009614: 7D92D349
	v_cndmask_b32_e32 v35, 0, v35, vcc                         // 000000009618: 00464680
	v_add_u32_e32 v73, 64, v72                                 // 00000000961C: 689290C0
	v_cmp_lt_u32_e32 vcc, v73, v105                            // 000000009620: 7D92D349
	v_cndmask_b32_e32 v36, 0, v36, vcc                         // 000000009624: 00484880
	v_add_u32_e32 v73, 0x41, v72                               // 000000009628: 689290FF 00000041
	v_cmp_lt_u32_e32 vcc, v73, v105                            // 000000009630: 7D92D349
	v_cndmask_b32_e32 v37, 0, v37, vcc                         // 000000009634: 004A4A80
	v_add_u32_e32 v73, 0x42, v72                               // 000000009638: 689290FF 00000042
	v_cmp_lt_u32_e32 vcc, v73, v105                            // 000000009640: 7D92D349
	v_cndmask_b32_e32 v38, 0, v38, vcc                         // 000000009644: 004C4C80
	v_add_u32_e32 v73, 0x43, v72                               // 000000009648: 689290FF 00000043
	v_cmp_lt_u32_e32 vcc, v73, v105                            // 000000009650: 7D92D349
	v_cndmask_b32_e32 v39, 0, v39, vcc                         // 000000009654: 004E4E80
	v_add_u32_e32 v73, 0x80, v72                               // 000000009658: 689290FF 00000080
	v_cmp_lt_u32_e32 vcc, v73, v105                            // 000000009660: 7D92D349
	v_cndmask_b32_e32 v40, 0, v40, vcc                         // 000000009664: 00505080
	v_add_u32_e32 v73, 0x81, v72                               // 000000009668: 689290FF 00000081
	v_cmp_lt_u32_e32 vcc, v73, v105                            // 000000009670: 7D92D349
	v_cndmask_b32_e32 v41, 0, v41, vcc                         // 000000009674: 00525280
	;; [unrolled: 3-line block ×4, first 2 shown]
	v_add_u32_e32 v73, 0xc0, v72                               // 000000009698: 689290FF 000000C0
	v_cmp_lt_u32_e32 vcc, v73, v105                            // 0000000096A0: 7D92D349
	v_cndmask_b32_e32 v44, 0, v44, vcc                         // 0000000096A4: 00585880
	v_add_u32_e32 v73, 0xc1, v72                               // 0000000096A8: 689290FF 000000C1
	v_cmp_lt_u32_e32 vcc, v73, v105                            // 0000000096B0: 7D92D349
	v_cndmask_b32_e32 v45, 0, v45, vcc                         // 0000000096B4: 005A5A80
	v_add_u32_e32 v73, 0xc2, v72                               // 0000000096B8: 689290FF 000000C2
	v_cmp_lt_u32_e32 vcc, v73, v105                            // 0000000096C0: 7D92D349
	v_cndmask_b32_e32 v46, 0, v46, vcc                         // 0000000096C4: 005C5C80
	v_add_u32_e32 v73, 0xc3, v72                               // 0000000096C8: 689290FF 000000C3
	v_cmp_lt_u32_e32 vcc, v73, v105                            // 0000000096D0: 7D92D349
	v_cndmask_b32_e32 v47, 0, v47, vcc                         // 0000000096D4: 005E5E80
	v_mov_b32_e32 v92, 0x358637bd                              // 0000000096D8: 7EB802FF 358637BD
	v_max3_f32 v92, |v32|, |v33|, v92                          // 0000000096E0: D1D3035C 05724320
	v_max3_f32 v92, |v34|, |v35|, v92                          // 0000000096E8: D1D3035C 05724722
	v_max3_f32 v92, |v36|, |v37|, v92                          // 0000000096F0: D1D3035C 05724B24
	v_max3_f32 v92, |v38|, |v39|, v92                          // 0000000096F8: D1D3035C 05724F26
	v_max3_f32 v92, |v40|, |v41|, v92                          // 000000009700: D1D3035C 05725328
	v_max3_f32 v92, |v42|, |v43|, v92                          // 000000009708: D1D3035C 0572572A
	v_max3_f32 v92, |v44|, |v45|, v92                          // 000000009710: D1D3035C 05725B2C
	v_max3_f32 v92, |v46|, |v47|, v92                          // 000000009718: D1D3035C 05725F2E
	ds_write_b32 v128, v92 offset:1280                         // 000000009720: D81A0500 00005C80
	buffer_load_dword v67, v116, s[20:23], 0 offen             // 000000009728: E0501000 80054374
	v_sub_f32_e32 v94, v96, v97                                // 000000009730: 04BCC360
	v_cmp_eq_u32_e64 s[98:99], v107, v96                       // 000000009734: D0CA0062 0002C16B
	s_nop 0                                                    // 00000000973C: BF800000
	v_cndmask_b32_e64 v94, v94, 0, s[98:99]                    // 000000009740: D100005E 0189015E
	v_mov_b32_e32 v96, v97                                     // 000000009748: 7EC00361
	v_mul_f32_e32 v94, s46, v94                                // 00000000974C: 0ABCBC2E
	v_exp_f32_e32 v94, v94                                     // 000000009750: 7EBC415E
	s_nop 0                                                    // 000000009754: BF800000
	v_mov_b32_e32 v95, v94                                     // 000000009758: 7EBE035E
	buffer_load_dword v69, v117, s[24:27], 0 offen             // 00000000975C: E0501000 80064575
	s_waitcnt lgkmcnt(0)                                       // 000000009764: BF8CC07F
	s_barrier                                                  // 000000009768: BF8A0000
	ds_read_b32 v76, v129 offset:1280                          // 00000000976C: D86C0500 4C000081
	ds_read_b32 v77, v129 offset:1344                          // 000000009774: D86C0540 4D000081
	ds_read_b32 v78, v129 offset:1408                          // 00000000977C: D86C0580 4E000081
	ds_read_b32 v79, v129 offset:1472                          // 000000009784: D86C05C0 4F000081
	ds_read_b32 v80, v129 offset:1536                          // 00000000978C: D86C0600 50000081
	ds_read_b32 v81, v129 offset:1600                          // 000000009794: D86C0640 51000081
	ds_read_b32 v82, v129 offset:1664                          // 00000000979C: D86C0680 52000081
	ds_read_b32 v83, v129 offset:1728                          // 0000000097A4: D86C06C0 53000081
	ds_read_b32 v84, v129 offset:1792                          // 0000000097AC: D86C0700 54000081
	ds_read_b32 v85, v129 offset:1856                          // 0000000097B4: D86C0740 55000081
	ds_read_b32 v86, v129 offset:1920                          // 0000000097BC: D86C0780 56000081
	ds_read_b32 v87, v129 offset:1984                          // 0000000097C4: D86C07C0 57000081
	ds_read_b32 v88, v129 offset:2048                          // 0000000097CC: D86C0800 58000081
	ds_read_b32 v89, v129 offset:2112                          // 0000000097D4: D86C0840 59000081
	ds_read_b32 v90, v129 offset:2176                          // 0000000097DC: D86C0880 5A000081
	ds_read_b32 v91, v129 offset:2240                          // 0000000097E4: D86C08C0 5B000081
	buffer_load_dwordx4 a[96:99], v112, s[16:19], 0 offen      // 0000000097EC: E05C1000 80846070
	v_mul_f32_e32 v98, v94, v98                                // 0000000097F4: 0AC4C55E
	v_add_f32_e32 v98, v16, v98                                // 0000000097F8: 02C4C510
	v_add_f32_e32 v98, v17, v98                                // 0000000097FC: 02C4C511
	v_add_f32_e32 v98, v18, v98                                // 000000009800: 02C4C512
	v_add_f32_e32 v98, v19, v98                                // 000000009804: 02C4C513
	v_add_f32_e32 v98, v20, v98                                // 000000009808: 02C4C514
	v_add_f32_e32 v98, v21, v98                                // 00000000980C: 02C4C515
	v_add_f32_e32 v98, v22, v98                                // 000000009810: 02C4C516
	v_add_f32_e32 v98, v23, v98                                // 000000009814: 02C4C517
	v_add_f32_e32 v98, v24, v98                                // 000000009818: 02C4C518
	v_add_f32_e32 v98, v25, v98                                // 00000000981C: 02C4C519
	v_add_f32_e32 v98, v26, v98                                // 000000009820: 02C4C51A
	v_add_f32_e32 v98, v27, v98                                // 000000009824: 02C4C51B
	v_add_f32_e32 v98, v28, v98                                // 000000009828: 02C4C51C
	v_add_f32_e32 v98, v29, v98                                // 00000000982C: 02C4C51D
	v_add_f32_e32 v98, v30, v98                                // 000000009830: 02C4C51E
	v_add_f32_e32 v98, v31, v98                                // 000000009834: 02C4C51F
	buffer_load_dwordx4 a[100:103], v113, s[16:19], 0 offen    // 000000009838: E05C1000 80846471
	s_waitcnt lgkmcnt(0)                                       // 000000009840: BF8CC07F
	v_max3_f32 v92, v76, v77, v92                              // 000000009844: D1D3005C 05729B4C
	v_max3_f32 v92, v78, v79, v92                              // 00000000984C: D1D3005C 05729F4E
	v_max3_f32 v92, v80, v81, v92                              // 000000009854: D1D3005C 0572A350
	v_max3_f32 v92, v82, v83, v92                              // 00000000985C: D1D3005C 0572A752
	v_max3_f32 v92, v84, v85, v92                              // 000000009864: D1D3005C 0572AB54
	v_max3_f32 v92, v86, v87, v92                              // 00000000986C: D1D3005C 0572AF56
	v_max3_f32 v92, v88, v89, v92                              // 000000009874: D1D3005C 0572B358
	v_max3_f32 v92, v90, v91, v92                              // 00000000987C: D1D3005C 0572B75A
	v_rcp_f32_e32 v92, v92                                     // 000000009884: 7EB8455C
	s_nop 0                                                    // 000000009888: BF800000
	v_mul_f32_e32 v92, 0x43700000, v92                         // 00000000988C: 0AB8B8FF 43700000
	v_mov_b32_e32 v93, v92                                     // 000000009894: 7EBA035C
	v_pk_mul_f32 v[16:17], v[92:93], v[32:33]                  // 000000009898: D3B14010 1802415C
	v_pk_mul_f32 v[18:19], v[92:93], v[34:35]                  // 0000000098A0: D3B14012 1802455C
	v_pk_mul_f32 v[20:21], v[92:93], v[36:37]                  // 0000000098A8: D3B14014 1802495C
	v_pk_mul_f32 v[22:23], v[92:93], v[38:39]                  // 0000000098B0: D3B14016 18024D5C
	v_pk_mul_f32 v[24:25], v[92:93], v[40:41]                  // 0000000098B8: D3B14018 1802515C
	v_pk_mul_f32 v[26:27], v[92:93], v[42:43]                  // 0000000098C0: D3B1401A 1802555C
	v_pk_mul_f32 v[28:29], v[92:93], v[44:45]                  // 0000000098C8: D3B1401C 1802595C
	v_pk_mul_f32 v[30:31], v[92:93], v[46:47]                  // 0000000098D0: D3B1401E 18025D5C
	v_cvt_pk_fp8_f32 v16, v16, v17                             // 0000000098D8: D2A20010 00022310
	v_cvt_pk_fp8_f32 v16, v18, v19 op_sel:[0,0,1]              // 0000000098E0: D2A24010 00022712
	v_cvt_pk_fp8_f32 v17, v20, v21                             // 0000000098E8: D2A20011 00022B14
	v_cvt_pk_fp8_f32 v17, v22, v23 op_sel:[0,0,1]              // 0000000098F0: D2A24011 00022F16
	v_cvt_pk_fp8_f32 v18, v24, v25                             // 0000000098F8: D2A20012 00023318
	v_cvt_pk_fp8_f32 v18, v26, v27 op_sel:[0,0,1]              // 000000009900: D2A24012 0002371A
	v_cvt_pk_fp8_f32 v19, v28, v29                             // 000000009908: D2A20013 00023B1C
	v_cvt_pk_fp8_f32 v19, v30, v31 op_sel:[0,0,1]              // 000000009910: D2A24013 00023F1E
	ds_write_b32 v130, v16 offset:2560                         // 000000009918: D81A0A00 00001082
	ds_write_b32 v130, v17 offset:3584                         // 000000009920: D81A0E00 00001182
	ds_write_b32 v130, v18 offset:4608                         // 000000009928: D81A1200 00001282
	ds_write_b32 v130, v19 offset:5632                         // 000000009930: D81A1600 00001382
	v_rcp_f32_e32 v70, v92                                     // 000000009938: 7E8C455C
	s_nop 0                                                    // 00000000993C: BF800000
	v_mov_b32_e32 v71, v70                                     // 000000009940: 7E8E0346
	buffer_load_dwordx4 a[104:107], v114, s[16:19], 0 offen    // 000000009944: E05C1000 80846872
	v_pk_add_f32 v[56:57], v[56:57], v[48:49]                  // 00000000994C: D3B24038 18026138
	v_pk_add_f32 v[58:59], v[58:59], v[50:51]                  // 000000009954: D3B2403A 1802653A
	v_pk_add_f32 v[60:61], v[60:61], v[52:53]                  // 00000000995C: D3B2403C 1802693C
	v_pk_add_f32 v[62:63], v[62:63], v[54:55]                  // 000000009964: D3B2403E 18026D3E
	s_waitcnt lgkmcnt(0)                                       // 00000000996C: BF8CC07F
	s_barrier                                                  // 000000009970: BF8A0000
	ds_read_b128 v[16:19], v131 offset:2560                    // 000000009974: D9FE0A00 10000083
	ds_read_b128 v[20:23], v131 offset:3584                    // 00000000997C: D9FE0E00 14000083
	ds_read_b128 v[24:27], v131 offset:4608                    // 000000009984: D9FE1200 18000083
	ds_read_b128 v[28:31], v131 offset:5632                    // 00000000998C: D9FE1600 1C000083
	buffer_load_dwordx4 a[108:111], v115, s[16:19], 0 offen    // 000000009994: E05C1000 80846C73
	s_waitcnt vmcnt(14)                                        // 00000000999C: BF8C0F7E
	v_lshrrev_b32_e32 v100, 4, v0                              // 0000000099A0: 20C80084
	v_lshlrev_b32_e32 v100, 4, v100                            // 0000000099A4: 24C8C884
	v_add_u32_e32 v72, s64, v100                               // 0000000099A8: 6890C840
	v_add_u32_e32 v72, 4, v72                                  // 0000000099AC: 68909084
	v_sub_i32 v72, v72, s62                                    // 0000000099B0: D29D0048 00007D48
	s_mov_b32 s54, 0                                           // 0000000099B8: BEB60080
	v_add_i32 v73, s54, v72                                    // 0000000099BC: D29C0049 00029036
	v_cmp_lt_i32_e64 vcc, v73, 4                               // 0000000099C4: D0C1006A 00010949
	v_min_u32_e32 v73, 4, v73                                  // 0000000099CC: 1C929284
	v_lshlrev_b32_e32 v73, 3, v73                              // 0000000099D0: 24929283
	v_lshrrev_b32_e64 v74, v73, -1                             // 0000000099D4: D110004A 00018349
	v_accvgpr_read_b32 v75, a64                                // 0000000099DC: D3D8404B 18000140
	v_cndmask_b32_e32 v75, 0, v75, vcc                         // 0000000099E4: 00969680
	v_and_b32_e32 v75, v75, v74                                // 0000000099E8: 2696954B
	v_accvgpr_write_b32 a64, v75                               // 0000000099EC: D3D94040 1800014B
	v_accvgpr_read_b32 v75, a80                                // 0000000099F4: D3D8404B 18000150
	v_cndmask_b32_e32 v75, 0, v75, vcc                         // 0000000099FC: 00969680
	v_and_b32_e32 v75, v75, v74                                // 000000009A00: 2696954B
	v_accvgpr_write_b32 a80, v75                               // 000000009A04: D3D94050 1800014B
	s_mov_b32 s54, 4                                           // 000000009A0C: BEB60084
	v_add_i32 v73, s54, v72                                    // 000000009A10: D29C0049 00029036
	v_cmp_lt_i32_e64 vcc, v73, 4                               // 000000009A18: D0C1006A 00010949
	v_min_u32_e32 v73, 4, v73                                  // 000000009A20: 1C929284
	v_lshlrev_b32_e32 v73, 3, v73                              // 000000009A24: 24929283
	v_lshrrev_b32_e64 v74, v73, -1                             // 000000009A28: D110004A 00018349
	v_accvgpr_read_b32 v75, a65                                // 000000009A30: D3D8404B 18000141
	v_cndmask_b32_e32 v75, 0, v75, vcc                         // 000000009A38: 00969680
	v_and_b32_e32 v75, v75, v74                                // 000000009A3C: 2696954B
	v_accvgpr_write_b32 a65, v75                               // 000000009A40: D3D94041 1800014B
	v_accvgpr_read_b32 v75, a81                                // 000000009A48: D3D8404B 18000151
	v_cndmask_b32_e32 v75, 0, v75, vcc                         // 000000009A50: 00969680
	v_and_b32_e32 v75, v75, v74                                // 000000009A54: 2696954B
	v_accvgpr_write_b32 a81, v75                               // 000000009A58: D3D94051 1800014B
	s_mov_b32 s54, 8                                           // 000000009A60: BEB60088
	v_add_i32 v73, s54, v72                                    // 000000009A64: D29C0049 00029036
	v_cmp_lt_i32_e64 vcc, v73, 4                               // 000000009A6C: D0C1006A 00010949
	v_min_u32_e32 v73, 4, v73                                  // 000000009A74: 1C929284
	v_lshlrev_b32_e32 v73, 3, v73                              // 000000009A78: 24929283
	v_lshrrev_b32_e64 v74, v73, -1                             // 000000009A7C: D110004A 00018349
	v_accvgpr_read_b32 v75, a66                                // 000000009A84: D3D8404B 18000142
	v_cndmask_b32_e32 v75, 0, v75, vcc                         // 000000009A8C: 00969680
	v_and_b32_e32 v75, v75, v74                                // 000000009A90: 2696954B
	v_accvgpr_write_b32 a66, v75                               // 000000009A94: D3D94042 1800014B
	v_accvgpr_read_b32 v75, a82                                // 000000009A9C: D3D8404B 18000152
	v_cndmask_b32_e32 v75, 0, v75, vcc                         // 000000009AA4: 00969680
	v_and_b32_e32 v75, v75, v74                                // 000000009AA8: 2696954B
	v_accvgpr_write_b32 a82, v75                               // 000000009AAC: D3D94052 1800014B
	s_mov_b32 s54, 12                                          // 000000009AB4: BEB6008C
	v_add_i32 v73, s54, v72                                    // 000000009AB8: D29C0049 00029036
	v_cmp_lt_i32_e64 vcc, v73, 4                               // 000000009AC0: D0C1006A 00010949
	v_min_u32_e32 v73, 4, v73                                  // 000000009AC8: 1C929284
	v_lshlrev_b32_e32 v73, 3, v73                              // 000000009ACC: 24929283
	v_lshrrev_b32_e64 v74, v73, -1                             // 000000009AD0: D110004A 00018349
	v_accvgpr_read_b32 v75, a67                                // 000000009AD8: D3D8404B 18000143
	v_cndmask_b32_e32 v75, 0, v75, vcc                         // 000000009AE0: 00969680
	v_and_b32_e32 v75, v75, v74                                // 000000009AE4: 2696954B
	v_accvgpr_write_b32 a67, v75                               // 000000009AE8: D3D94043 1800014B
	v_accvgpr_read_b32 v75, a83                                // 000000009AF0: D3D8404B 18000153
	v_cndmask_b32_e32 v75, 0, v75, vcc                         // 000000009AF8: 00969680
	v_and_b32_e32 v75, v75, v74                                // 000000009AFC: 2696954B
	v_accvgpr_write_b32 a83, v75                               // 000000009B00: D3D94053 1800014B
	s_mov_b32 s54, 64                                          // 000000009B08: BEB600C0
	v_add_i32 v73, s54, v72                                    // 000000009B0C: D29C0049 00029036
	v_cmp_lt_i32_e64 vcc, v73, 4                               // 000000009B14: D0C1006A 00010949
	v_min_u32_e32 v73, 4, v73                                  // 000000009B1C: 1C929284
	v_lshlrev_b32_e32 v73, 3, v73                              // 000000009B20: 24929283
	v_lshrrev_b32_e64 v74, v73, -1                             // 000000009B24: D110004A 00018349
	v_accvgpr_read_b32 v75, a68                                // 000000009B2C: D3D8404B 18000144
	v_cndmask_b32_e32 v75, 0, v75, vcc                         // 000000009B34: 00969680
	v_and_b32_e32 v75, v75, v74                                // 000000009B38: 2696954B
	v_accvgpr_write_b32 a68, v75                               // 000000009B3C: D3D94044 1800014B
	v_accvgpr_read_b32 v75, a84                                // 000000009B44: D3D8404B 18000154
	v_cndmask_b32_e32 v75, 0, v75, vcc                         // 000000009B4C: 00969680
	v_and_b32_e32 v75, v75, v74                                // 000000009B50: 2696954B
	v_accvgpr_write_b32 a84, v75                               // 000000009B54: D3D94054 1800014B
	s_mov_b32 s54, 0x44                                        // 000000009B5C: BEB600FF 00000044
	v_add_i32 v73, s54, v72                                    // 000000009B64: D29C0049 00029036
	v_cmp_lt_i32_e64 vcc, v73, 4                               // 000000009B6C: D0C1006A 00010949
	v_min_u32_e32 v73, 4, v73                                  // 000000009B74: 1C929284
	v_lshlrev_b32_e32 v73, 3, v73                              // 000000009B78: 24929283
	v_lshrrev_b32_e64 v74, v73, -1                             // 000000009B7C: D110004A 00018349
	v_accvgpr_read_b32 v75, a69                                // 000000009B84: D3D8404B 18000145
	v_cndmask_b32_e32 v75, 0, v75, vcc                         // 000000009B8C: 00969680
	v_and_b32_e32 v75, v75, v74                                // 000000009B90: 2696954B
	v_accvgpr_write_b32 a69, v75                               // 000000009B94: D3D94045 1800014B
	v_accvgpr_read_b32 v75, a85                                // 000000009B9C: D3D8404B 18000155
	v_cndmask_b32_e32 v75, 0, v75, vcc                         // 000000009BA4: 00969680
	v_and_b32_e32 v75, v75, v74                                // 000000009BA8: 2696954B
	v_accvgpr_write_b32 a85, v75                               // 000000009BAC: D3D94055 1800014B
	s_mov_b32 s54, 0x48                                        // 000000009BB4: BEB600FF 00000048
	v_add_i32 v73, s54, v72                                    // 000000009BBC: D29C0049 00029036
	v_cmp_lt_i32_e64 vcc, v73, 4                               // 000000009BC4: D0C1006A 00010949
	v_min_u32_e32 v73, 4, v73                                  // 000000009BCC: 1C929284
	v_lshlrev_b32_e32 v73, 3, v73                              // 000000009BD0: 24929283
	v_lshrrev_b32_e64 v74, v73, -1                             // 000000009BD4: D110004A 00018349
	v_accvgpr_read_b32 v75, a70                                // 000000009BDC: D3D8404B 18000146
	v_cndmask_b32_e32 v75, 0, v75, vcc                         // 000000009BE4: 00969680
	v_and_b32_e32 v75, v75, v74                                // 000000009BE8: 2696954B
	v_accvgpr_write_b32 a70, v75                               // 000000009BEC: D3D94046 1800014B
	v_accvgpr_read_b32 v75, a86                                // 000000009BF4: D3D8404B 18000156
	v_cndmask_b32_e32 v75, 0, v75, vcc                         // 000000009BFC: 00969680
	v_and_b32_e32 v75, v75, v74                                // 000000009C00: 2696954B
	v_accvgpr_write_b32 a86, v75                               // 000000009C04: D3D94056 1800014B
	s_mov_b32 s54, 0x4c                                        // 000000009C0C: BEB600FF 0000004C
	v_add_i32 v73, s54, v72                                    // 000000009C14: D29C0049 00029036
	v_cmp_lt_i32_e64 vcc, v73, 4                               // 000000009C1C: D0C1006A 00010949
	v_min_u32_e32 v73, 4, v73                                  // 000000009C24: 1C929284
	v_lshlrev_b32_e32 v73, 3, v73                              // 000000009C28: 24929283
	v_lshrrev_b32_e64 v74, v73, -1                             // 000000009C2C: D110004A 00018349
	v_accvgpr_read_b32 v75, a71                                // 000000009C34: D3D8404B 18000147
	v_cndmask_b32_e32 v75, 0, v75, vcc                         // 000000009C3C: 00969680
	v_and_b32_e32 v75, v75, v74                                // 000000009C40: 2696954B
	v_accvgpr_write_b32 a71, v75                               // 000000009C44: D3D94047 1800014B
	v_accvgpr_read_b32 v75, a87                                // 000000009C4C: D3D8404B 18000157
	v_cndmask_b32_e32 v75, 0, v75, vcc                         // 000000009C54: 00969680
	v_and_b32_e32 v75, v75, v74                                // 000000009C58: 2696954B
	v_accvgpr_write_b32 a87, v75                               // 000000009C5C: D3D94057 1800014B
	s_mov_b32 s54, 0x80                                        // 000000009C64: BEB600FF 00000080
	v_add_i32 v73, s54, v72                                    // 000000009C6C: D29C0049 00029036
	v_cmp_lt_i32_e64 vcc, v73, 4                               // 000000009C74: D0C1006A 00010949
	v_min_u32_e32 v73, 4, v73                                  // 000000009C7C: 1C929284
	v_lshlrev_b32_e32 v73, 3, v73                              // 000000009C80: 24929283
	v_lshrrev_b32_e64 v74, v73, -1                             // 000000009C84: D110004A 00018349
	v_accvgpr_read_b32 v75, a72                                // 000000009C8C: D3D8404B 18000148
	v_cndmask_b32_e32 v75, 0, v75, vcc                         // 000000009C94: 00969680
	v_and_b32_e32 v75, v75, v74                                // 000000009C98: 2696954B
	v_accvgpr_write_b32 a72, v75                               // 000000009C9C: D3D94048 1800014B
	v_accvgpr_read_b32 v75, a88                                // 000000009CA4: D3D8404B 18000158
	v_cndmask_b32_e32 v75, 0, v75, vcc                         // 000000009CAC: 00969680
	v_and_b32_e32 v75, v75, v74                                // 000000009CB0: 2696954B
	v_accvgpr_write_b32 a88, v75                               // 000000009CB4: D3D94058 1800014B
	s_mov_b32 s54, 0x84                                        // 000000009CBC: BEB600FF 00000084
	v_add_i32 v73, s54, v72                                    // 000000009CC4: D29C0049 00029036
	v_cmp_lt_i32_e64 vcc, v73, 4                               // 000000009CCC: D0C1006A 00010949
	v_min_u32_e32 v73, 4, v73                                  // 000000009CD4: 1C929284
	v_lshlrev_b32_e32 v73, 3, v73                              // 000000009CD8: 24929283
	v_lshrrev_b32_e64 v74, v73, -1                             // 000000009CDC: D110004A 00018349
	v_accvgpr_read_b32 v75, a73                                // 000000009CE4: D3D8404B 18000149
	v_cndmask_b32_e32 v75, 0, v75, vcc                         // 000000009CEC: 00969680
	v_and_b32_e32 v75, v75, v74                                // 000000009CF0: 2696954B
	v_accvgpr_write_b32 a73, v75                               // 000000009CF4: D3D94049 1800014B
	v_accvgpr_read_b32 v75, a89                                // 000000009CFC: D3D8404B 18000159
	v_cndmask_b32_e32 v75, 0, v75, vcc                         // 000000009D04: 00969680
	v_and_b32_e32 v75, v75, v74                                // 000000009D08: 2696954B
	v_accvgpr_write_b32 a89, v75                               // 000000009D0C: D3D94059 1800014B
	s_mov_b32 s54, 0x88                                        // 000000009D14: BEB600FF 00000088
	v_add_i32 v73, s54, v72                                    // 000000009D1C: D29C0049 00029036
	v_cmp_lt_i32_e64 vcc, v73, 4                               // 000000009D24: D0C1006A 00010949
	v_min_u32_e32 v73, 4, v73                                  // 000000009D2C: 1C929284
	v_lshlrev_b32_e32 v73, 3, v73                              // 000000009D30: 24929283
	v_lshrrev_b32_e64 v74, v73, -1                             // 000000009D34: D110004A 00018349
	v_accvgpr_read_b32 v75, a74                                // 000000009D3C: D3D8404B 1800014A
	v_cndmask_b32_e32 v75, 0, v75, vcc                         // 000000009D44: 00969680
	v_and_b32_e32 v75, v75, v74                                // 000000009D48: 2696954B
	v_accvgpr_write_b32 a74, v75                               // 000000009D4C: D3D9404A 1800014B
	v_accvgpr_read_b32 v75, a90                                // 000000009D54: D3D8404B 1800015A
	v_cndmask_b32_e32 v75, 0, v75, vcc                         // 000000009D5C: 00969680
	v_and_b32_e32 v75, v75, v74                                // 000000009D60: 2696954B
	v_accvgpr_write_b32 a90, v75                               // 000000009D64: D3D9405A 1800014B
	s_mov_b32 s54, 0x8c                                        // 000000009D6C: BEB600FF 0000008C
	v_add_i32 v73, s54, v72                                    // 000000009D74: D29C0049 00029036
	v_cmp_lt_i32_e64 vcc, v73, 4                               // 000000009D7C: D0C1006A 00010949
	v_min_u32_e32 v73, 4, v73                                  // 000000009D84: 1C929284
	v_lshlrev_b32_e32 v73, 3, v73                              // 000000009D88: 24929283
	v_lshrrev_b32_e64 v74, v73, -1                             // 000000009D8C: D110004A 00018349
	v_accvgpr_read_b32 v75, a75                                // 000000009D94: D3D8404B 1800014B
	v_cndmask_b32_e32 v75, 0, v75, vcc                         // 000000009D9C: 00969680
	v_and_b32_e32 v75, v75, v74                                // 000000009DA0: 2696954B
	v_accvgpr_write_b32 a75, v75                               // 000000009DA4: D3D9404B 1800014B
	v_accvgpr_read_b32 v75, a91                                // 000000009DAC: D3D8404B 1800015B
	v_cndmask_b32_e32 v75, 0, v75, vcc                         // 000000009DB4: 00969680
	v_and_b32_e32 v75, v75, v74                                // 000000009DB8: 2696954B
	v_accvgpr_write_b32 a91, v75                               // 000000009DBC: D3D9405B 1800014B
	s_mov_b32 s54, 0xc0                                        // 000000009DC4: BEB600FF 000000C0
	v_add_i32 v73, s54, v72                                    // 000000009DCC: D29C0049 00029036
	v_cmp_lt_i32_e64 vcc, v73, 4                               // 000000009DD4: D0C1006A 00010949
	v_min_u32_e32 v73, 4, v73                                  // 000000009DDC: 1C929284
	v_lshlrev_b32_e32 v73, 3, v73                              // 000000009DE0: 24929283
	v_lshrrev_b32_e64 v74, v73, -1                             // 000000009DE4: D110004A 00018349
	v_accvgpr_read_b32 v75, a76                                // 000000009DEC: D3D8404B 1800014C
	v_cndmask_b32_e32 v75, 0, v75, vcc                         // 000000009DF4: 00969680
	v_and_b32_e32 v75, v75, v74                                // 000000009DF8: 2696954B
	v_accvgpr_write_b32 a76, v75                               // 000000009DFC: D3D9404C 1800014B
	v_accvgpr_read_b32 v75, a92                                // 000000009E04: D3D8404B 1800015C
	v_cndmask_b32_e32 v75, 0, v75, vcc                         // 000000009E0C: 00969680
	v_and_b32_e32 v75, v75, v74                                // 000000009E10: 2696954B
	v_accvgpr_write_b32 a92, v75                               // 000000009E14: D3D9405C 1800014B
	s_mov_b32 s54, 0xc4                                        // 000000009E1C: BEB600FF 000000C4
	v_add_i32 v73, s54, v72                                    // 000000009E24: D29C0049 00029036
	v_cmp_lt_i32_e64 vcc, v73, 4                               // 000000009E2C: D0C1006A 00010949
	v_min_u32_e32 v73, 4, v73                                  // 000000009E34: 1C929284
	v_lshlrev_b32_e32 v73, 3, v73                              // 000000009E38: 24929283
	v_lshrrev_b32_e64 v74, v73, -1                             // 000000009E3C: D110004A 00018349
	v_accvgpr_read_b32 v75, a77                                // 000000009E44: D3D8404B 1800014D
	v_cndmask_b32_e32 v75, 0, v75, vcc                         // 000000009E4C: 00969680
	v_and_b32_e32 v75, v75, v74                                // 000000009E50: 2696954B
	v_accvgpr_write_b32 a77, v75                               // 000000009E54: D3D9404D 1800014B
	v_accvgpr_read_b32 v75, a93                                // 000000009E5C: D3D8404B 1800015D
	v_cndmask_b32_e32 v75, 0, v75, vcc                         // 000000009E64: 00969680
	v_and_b32_e32 v75, v75, v74                                // 000000009E68: 2696954B
	v_accvgpr_write_b32 a93, v75                               // 000000009E6C: D3D9405D 1800014B
	s_mov_b32 s54, 0xc8                                        // 000000009E74: BEB600FF 000000C8
	v_add_i32 v73, s54, v72                                    // 000000009E7C: D29C0049 00029036
	v_cmp_lt_i32_e64 vcc, v73, 4                               // 000000009E84: D0C1006A 00010949
	v_min_u32_e32 v73, 4, v73                                  // 000000009E8C: 1C929284
	v_lshlrev_b32_e32 v73, 3, v73                              // 000000009E90: 24929283
	v_lshrrev_b32_e64 v74, v73, -1                             // 000000009E94: D110004A 00018349
	v_accvgpr_read_b32 v75, a78                                // 000000009E9C: D3D8404B 1800014E
	v_cndmask_b32_e32 v75, 0, v75, vcc                         // 000000009EA4: 00969680
	v_and_b32_e32 v75, v75, v74                                // 000000009EA8: 2696954B
	v_accvgpr_write_b32 a78, v75                               // 000000009EAC: D3D9404E 1800014B
	v_accvgpr_read_b32 v75, a94                                // 000000009EB4: D3D8404B 1800015E
	v_cndmask_b32_e32 v75, 0, v75, vcc                         // 000000009EBC: 00969680
	v_and_b32_e32 v75, v75, v74                                // 000000009EC0: 2696954B
	v_accvgpr_write_b32 a94, v75                               // 000000009EC4: D3D9405E 1800014B
	s_mov_b32 s54, 0xcc                                        // 000000009ECC: BEB600FF 000000CC
	v_add_i32 v73, s54, v72                                    // 000000009ED4: D29C0049 00029036
	v_cmp_lt_i32_e64 vcc, v73, 4                               // 000000009EDC: D0C1006A 00010949
	v_min_u32_e32 v73, 4, v73                                  // 000000009EE4: 1C929284
	v_lshlrev_b32_e32 v73, 3, v73                              // 000000009EE8: 24929283
	v_lshrrev_b32_e64 v74, v73, -1                             // 000000009EEC: D110004A 00018349
	v_accvgpr_read_b32 v75, a79                                // 000000009EF4: D3D8404B 1800014F
	v_cndmask_b32_e32 v75, 0, v75, vcc                         // 000000009EFC: 00969680
	v_and_b32_e32 v75, v75, v74                                // 000000009F00: 2696954B
	v_accvgpr_write_b32 a79, v75                               // 000000009F04: D3D9404F 1800014B
	v_accvgpr_read_b32 v75, a95                                // 000000009F0C: D3D8404B 1800015F
	v_cndmask_b32_e32 v75, 0, v75, vcc                         // 000000009F14: 00969680
	v_and_b32_e32 v75, v75, v74                                // 000000009F18: 2696954B
	v_accvgpr_write_b32 a95, v75                               // 000000009F1C: D3D9405F 1800014B
	s_waitcnt lgkmcnt(3)                                       // 000000009F24: BF8CC37F
	v_mfma_f32_16x16x32_fp8_fp8 v[48:51], a[64:65], v[16:17], 0// 000000009F28: D3F30030 0A022140
	v_mfma_f32_16x16x32_fp8_fp8 v[52:55], a[80:81], v[16:17], 0// 000000009F30: D3F30034 0A022150
	v_mfma_f32_16x16x32_fp8_fp8 v[48:51], a[66:67], v[18:19], v[48:51]// 000000009F38: D3F30030 0CC22542
	buffer_load_dwordx4 a[112:115], v112, s[16:19], 0 offen offset:1024// 000000009F40: E05C1400 80847070
	v_mfma_f32_16x16x32_fp8_fp8 v[52:55], a[82:83], v[18:19], v[52:55]// 000000009F48: D3F30034 0CD22552
	s_waitcnt lgkmcnt(2)                                       // 000000009F50: BF8CC27F
	v_mfma_f32_16x16x32_fp8_fp8 v[48:51], a[68:69], v[20:21], v[48:51]// 000000009F54: D3F30030 0CC22944
	v_mfma_f32_16x16x32_fp8_fp8 v[52:55], a[84:85], v[20:21], v[52:55]// 000000009F5C: D3F30034 0CD22954
	v_mfma_f32_16x16x32_fp8_fp8 v[48:51], a[70:71], v[22:23], v[48:51]// 000000009F64: D3F30030 0CC22D46
	buffer_load_dwordx4 a[116:119], v113, s[16:19], 0 offen offset:1024// 000000009F6C: E05C1400 80847471
	v_mfma_f32_16x16x32_fp8_fp8 v[52:55], a[86:87], v[22:23], v[52:55]// 000000009F74: D3F30034 0CD22D56
	s_waitcnt lgkmcnt(1)                                       // 000000009F7C: BF8CC17F
	v_mfma_f32_16x16x32_fp8_fp8 v[48:51], a[72:73], v[24:25], v[48:51]// 000000009F80: D3F30030 0CC23148
	v_mfma_f32_16x16x32_fp8_fp8 v[52:55], a[88:89], v[24:25], v[52:55]// 000000009F88: D3F30034 0CD23158
	v_mfma_f32_16x16x32_fp8_fp8 v[48:51], a[74:75], v[26:27], v[48:51]// 000000009F90: D3F30030 0CC2354A
	buffer_load_dwordx4 a[120:123], v114, s[16:19], 0 offen offset:1024// 000000009F98: E05C1400 80847872
	v_mfma_f32_16x16x32_fp8_fp8 v[52:55], a[90:91], v[26:27], v[52:55]// 000000009FA0: D3F30034 0CD2355A
	s_waitcnt lgkmcnt(0)                                       // 000000009FA8: BF8CC07F
	v_mfma_f32_16x16x32_fp8_fp8 v[48:51], a[76:77], v[28:29], v[48:51]// 000000009FAC: D3F30030 0CC2394C
	v_mfma_f32_16x16x32_fp8_fp8 v[52:55], a[92:93], v[28:29], v[52:55]// 000000009FB4: D3F30034 0CD2395C
	v_mfma_f32_16x16x32_fp8_fp8 v[48:51], a[78:79], v[30:31], v[48:51]// 000000009FBC: D3F30030 0CC23D4E
	buffer_load_dwordx4 a[124:127], v115, s[16:19], 0 offen offset:1024// 000000009FC4: E05C1400 80847C73
	v_mfma_f32_16x16x32_fp8_fp8 v[52:55], a[94:95], v[30:31], v[52:55]// 000000009FCC: D3F30034 0CD23D5E
	s_addk_i32 s64, 0x100                                      // 000000009FD4: B7400100

0000000000009fd8 <label_1DF6>:
	s_cmp_lt_i32 s64, s62                                      // 000000009FD8: BF043E40
	s_cbranch_scc0 label_21EB                                  // 000000009FDC: BF8403F3
	s_waitcnt vmcnt(10)                                        // 000000009FE0: BF8C0F7A
	v_mfma_f32_16x16x32_fp8_fp8 v[16:19], a[32:33], v[8:9], 0  // 000000009FE4: D3F30010 0A021120
	s_add_u32 s12, s86, s69                                    // 000000009FEC: 800C4556
	s_addc_u32 s13, s87, 0                                     // 000000009FF0: 820D8057
	v_mfma_f32_16x16x32_fp8_fp8 v[16:19], a[34:35], v[10:11], v[16:19]// 000000009FF4: D3F30010 0C421522
	s_add_u32 s16, s88, s70                                    // 000000009FFC: 80104658
	s_addc_u32 s17, s89, 0                                     // 00000000A000: 82118059
	v_mfma_f32_16x16x32_fp8_fp8 v[16:19], a[36:37], v[12:13], v[16:19]// 00000000A004: D3F30010 0C421924
	buffer_load_dwordx4 a[0:3], v110, s[12:15], 0 offen        // 00000000A00C: E05C1000 8083006E
	v_mfma_f32_16x16x32_fp8_fp8 v[16:19], a[38:39], v[14:15], v[16:19]// 00000000A014: D3F30010 0C421D26
	s_add_u32 s20, s90, s71                                    // 00000000A01C: 8014475A
	s_addc_u32 s21, s91, 0                                     // 00000000A020: 8215805B
	v_mfma_f32_16x16x32_fp8_fp8 v[20:23], a[40:41], v[8:9], 0  // 00000000A024: D3F30014 0A021128
	s_add_u32 s24, s92, s71                                    // 00000000A02C: 8018475C
	s_addc_u32 s25, s93, 0                                     // 00000000A030: 8219805D
	v_mfma_f32_16x16x32_fp8_fp8 v[20:23], a[42:43], v[10:11], v[20:23]// 00000000A034: D3F30014 0C52152A
	s_add_u32 s69, s69, 0x1000                                 // 00000000A03C: 8045FF45 00001000
	s_add_u32 s70, s70, 0x8000                                 // 00000000A044: 8046FF46 00008000
	v_mfma_f32_16x16x32_fp8_fp8 v[20:23], a[44:45], v[12:13], v[20:23]// 00000000A04C: D3F30014 0C52192C
	buffer_load_dwordx4 a[4:7], v111, s[12:15], 0 offen        // 00000000A054: E05C1000 8083046F
	v_mfma_f32_16x16x32_fp8_fp8 v[20:23], a[46:47], v[14:15], v[20:23]// 00000000A05C: D3F30014 0C521D2E
	s_add_u32 s71, s71, 0x400                                  // 00000000A064: 8047FF47 00000400
	v_mfma_f32_16x16x32_fp8_fp8 v[24:27], a[48:49], v[8:9], 0  // 00000000A06C: D3F30018 0A021130
	v_mfma_f32_16x16x32_fp8_fp8 v[24:27], a[50:51], v[10:11], v[24:27]// 00000000A074: D3F30018 0C621532
	v_mfma_f32_16x16x32_fp8_fp8 v[24:27], a[52:53], v[12:13], v[24:27]// 00000000A07C: D3F30018 0C621934
	buffer_load_dwordx4 a[8:11], v110, s[12:15], 0 offen offset:1024// 00000000A084: E05C1400 8083086E
	v_mfma_f32_16x16x32_fp8_fp8 v[24:27], a[54:55], v[14:15], v[24:27]// 00000000A08C: D3F30018 0C621D36
	v_mfma_f32_16x16x32_fp8_fp8 v[28:31], a[56:57], v[8:9], 0  // 00000000A094: D3F3001C 0A021138
	v_mfma_f32_16x16x32_fp8_fp8 v[28:31], a[58:59], v[10:11], v[28:31]// 00000000A09C: D3F3001C 0C72153A
	v_mfma_f32_16x16x32_fp8_fp8 v[28:31], a[60:61], v[12:13], v[28:31]// 00000000A0A4: D3F3001C 0C72193C
	buffer_load_dwordx4 a[12:15], v111, s[12:15], 0 offen offset:1024// 00000000A0AC: E05C1400 80830C6F
	v_mfma_f32_16x16x32_fp8_fp8 v[28:31], a[62:63], v[14:15], v[28:31]// 00000000A0B4: D3F3001C 0C721D3E
	s_waitcnt vmcnt(12)                                        // 00000000A0BC: BF8C0F7C
	v_pk_mul_f32 v[16:17], v[64:65], v[16:17]                  // 00000000A0C0: D3B14010 18022140
	v_pk_mul_f32 v[18:19], v[64:65], v[18:19]                  // 00000000A0C8: D3B14012 18022540
	v_mul_f32_dpp v16, v67, v16 row_newbcast:0 row_mask:0xf bank_mask:0xf// 00000000A0D0: 0A2020FA FF015043
	v_mul_f32_dpp v17, v67, v17 row_newbcast:1 row_mask:0xf bank_mask:0xf// 00000000A0D8: 0A2222FA FF015143
	v_mul_f32_dpp v18, v67, v18 row_newbcast:2 row_mask:0xf bank_mask:0xf// 00000000A0E0: 0A2424FA FF015243
	v_mul_f32_dpp v19, v67, v19 row_newbcast:3 row_mask:0xf bank_mask:0xf// 00000000A0E8: 0A2626FA FF015343
	v_pk_mul_f32 v[20:21], v[64:65], v[20:21]                  // 00000000A0F0: D3B14014 18022940
	v_pk_mul_f32 v[22:23], v[64:65], v[22:23]                  // 00000000A0F8: D3B14016 18022D40
	v_mul_f32_dpp v20, v67, v20 row_newbcast:4 row_mask:0xf bank_mask:0xf// 00000000A100: 0A2828FA FF015443
	v_mul_f32_dpp v21, v67, v21 row_newbcast:5 row_mask:0xf bank_mask:0xf// 00000000A108: 0A2A2AFA FF015543
	v_mul_f32_dpp v22, v67, v22 row_newbcast:6 row_mask:0xf bank_mask:0xf// 00000000A110: 0A2C2CFA FF015643
	v_mul_f32_dpp v23, v67, v23 row_newbcast:7 row_mask:0xf bank_mask:0xf// 00000000A118: 0A2E2EFA FF015743
	v_pk_mul_f32 v[24:25], v[64:65], v[24:25]                  // 00000000A120: D3B14018 18023140
	v_pk_mul_f32 v[26:27], v[64:65], v[26:27]                  // 00000000A128: D3B1401A 18023540
	v_mul_f32_dpp v24, v67, v24 row_newbcast:8 row_mask:0xf bank_mask:0xf// 00000000A130: 0A3030FA FF015843
	v_mul_f32_dpp v25, v67, v25 row_newbcast:9 row_mask:0xf bank_mask:0xf// 00000000A138: 0A3232FA FF015943
	v_mul_f32_dpp v26, v67, v26 row_newbcast:10 row_mask:0xf bank_mask:0xf// 00000000A140: 0A3434FA FF015A43
	v_mul_f32_dpp v27, v67, v27 row_newbcast:11 row_mask:0xf bank_mask:0xf// 00000000A148: 0A3636FA FF015B43
	v_pk_mul_f32 v[28:29], v[64:65], v[28:29]                  // 00000000A150: D3B1401C 18023940
	v_pk_mul_f32 v[30:31], v[64:65], v[30:31]                  // 00000000A158: D3B1401E 18023D40
	v_mul_f32_dpp v28, v67, v28 row_newbcast:12 row_mask:0xf bank_mask:0xf// 00000000A160: 0A3838FA FF015C43
	v_mul_f32_dpp v29, v67, v29 row_newbcast:13 row_mask:0xf bank_mask:0xf// 00000000A168: 0A3A3AFA FF015D43
	v_mul_f32_dpp v30, v67, v30 row_newbcast:14 row_mask:0xf bank_mask:0xf// 00000000A170: 0A3C3CFA FF015E43
	v_mul_f32_dpp v31, v67, v31 row_newbcast:15 row_mask:0xf bank_mask:0xf// 00000000A178: 0A3E3EFA FF015F43
	buffer_load_dwordx4 a[16:19], v110, s[12:15], 0 offen offset:2048// 00000000A180: E05C1800 8083106E
	v_add_u32_e32 v72, s64, v106                               // 00000000A188: 6890D440
	v_add_u32_e32 v73, 0, v72                                  // 00000000A18C: 68929080
	v_cmp_lt_u32_e64 s[98:99], v73, v105                       // 00000000A190: D0C90062 0002D349
	s_nop 0                                                    // 00000000A198: BF800000
	v_cndmask_b32_e64 v16, v107, v16, s[98:99]                 // 00000000A19C: D1000010 018A216B
	v_add_u32_e32 v73, 1, v72                                  // 00000000A1A4: 68929081
	v_cmp_lt_u32_e64 s[98:99], v73, v105                       // 00000000A1A8: D0C90062 0002D349
	s_nop 0                                                    // 00000000A1B0: BF800000
	v_cndmask_b32_e64 v17, v107, v17, s[98:99]                 // 00000000A1B4: D1000011 018A236B
	v_add_u32_e32 v73, 2, v72                                  // 00000000A1BC: 68929082
	v_cmp_lt_u32_e64 s[98:99], v73, v105                       // 00000000A1C0: D0C90062 0002D349
	s_nop 0                                                    // 00000000A1C8: BF800000
	v_cndmask_b32_e64 v18, v107, v18, s[98:99]                 // 00000000A1CC: D1000012 018A256B
	v_add_u32_e32 v73, 3, v72                                  // 00000000A1D4: 68929083
	v_cmp_lt_u32_e64 s[98:99], v73, v105                       // 00000000A1D8: D0C90062 0002D349
	s_nop 0                                                    // 00000000A1E0: BF800000
	v_cndmask_b32_e64 v19, v107, v19, s[98:99]                 // 00000000A1E4: D1000013 018A276B
	v_add_u32_e32 v73, 64, v72                                 // 00000000A1EC: 689290C0
	v_cmp_lt_u32_e64 s[98:99], v73, v105                       // 00000000A1F0: D0C90062 0002D349
	s_nop 0                                                    // 00000000A1F8: BF800000
	v_cndmask_b32_e64 v20, v107, v20, s[98:99]                 // 00000000A1FC: D1000014 018A296B
	v_add_u32_e32 v73, 0x41, v72                               // 00000000A204: 689290FF 00000041
	v_cmp_lt_u32_e64 s[98:99], v73, v105                       // 00000000A20C: D0C90062 0002D349
	s_nop 0                                                    // 00000000A214: BF800000
	v_cndmask_b32_e64 v21, v107, v21, s[98:99]                 // 00000000A218: D1000015 018A2B6B
	v_add_u32_e32 v73, 0x42, v72                               // 00000000A220: 689290FF 00000042
	v_cmp_lt_u32_e64 s[98:99], v73, v105                       // 00000000A228: D0C90062 0002D349
	s_nop 0                                                    // 00000000A230: BF800000
	v_cndmask_b32_e64 v22, v107, v22, s[98:99]                 // 00000000A234: D1000016 018A2D6B
	v_add_u32_e32 v73, 0x43, v72                               // 00000000A23C: 689290FF 00000043
	v_cmp_lt_u32_e64 s[98:99], v73, v105                       // 00000000A244: D0C90062 0002D349
	s_nop 0                                                    // 00000000A24C: BF800000
	v_cndmask_b32_e64 v23, v107, v23, s[98:99]                 // 00000000A250: D1000017 018A2F6B
	v_add_u32_e32 v73, 0x80, v72                               // 00000000A258: 689290FF 00000080
	v_cmp_lt_u32_e64 s[98:99], v73, v105                       // 00000000A260: D0C90062 0002D349
	s_nop 0                                                    // 00000000A268: BF800000
	v_cndmask_b32_e64 v24, v107, v24, s[98:99]                 // 00000000A26C: D1000018 018A316B
	v_add_u32_e32 v73, 0x81, v72                               // 00000000A274: 689290FF 00000081
	v_cmp_lt_u32_e64 s[98:99], v73, v105                       // 00000000A27C: D0C90062 0002D349
	s_nop 0                                                    // 00000000A284: BF800000
	v_cndmask_b32_e64 v25, v107, v25, s[98:99]                 // 00000000A288: D1000019 018A336B
	v_add_u32_e32 v73, 0x82, v72                               // 00000000A290: 689290FF 00000082
	v_cmp_lt_u32_e64 s[98:99], v73, v105                       // 00000000A298: D0C90062 0002D349
	s_nop 0                                                    // 00000000A2A0: BF800000
	v_cndmask_b32_e64 v26, v107, v26, s[98:99]                 // 00000000A2A4: D100001A 018A356B
	v_add_u32_e32 v73, 0x83, v72                               // 00000000A2AC: 689290FF 00000083
	v_cmp_lt_u32_e64 s[98:99], v73, v105                       // 00000000A2B4: D0C90062 0002D349
	s_nop 0                                                    // 00000000A2BC: BF800000
	v_cndmask_b32_e64 v27, v107, v27, s[98:99]                 // 00000000A2C0: D100001B 018A376B
	v_add_u32_e32 v73, 0xc0, v72                               // 00000000A2C8: 689290FF 000000C0
	v_cmp_lt_u32_e64 s[98:99], v73, v105                       // 00000000A2D0: D0C90062 0002D349
	s_nop 0                                                    // 00000000A2D8: BF800000
	v_cndmask_b32_e64 v28, v107, v28, s[98:99]                 // 00000000A2DC: D100001C 018A396B
	v_add_u32_e32 v73, 0xc1, v72                               // 00000000A2E4: 689290FF 000000C1
	v_cmp_lt_u32_e64 s[98:99], v73, v105                       // 00000000A2EC: D0C90062 0002D349
	s_nop 0                                                    // 00000000A2F4: BF800000
	v_cndmask_b32_e64 v29, v107, v29, s[98:99]                 // 00000000A2F8: D100001D 018A3B6B
	v_add_u32_e32 v73, 0xc2, v72                               // 00000000A300: 689290FF 000000C2
	v_cmp_lt_u32_e64 s[98:99], v73, v105                       // 00000000A308: D0C90062 0002D349
	s_nop 0                                                    // 00000000A310: BF800000
	v_cndmask_b32_e64 v30, v107, v30, s[98:99]                 // 00000000A314: D100001E 018A3D6B
	v_add_u32_e32 v73, 0xc3, v72                               // 00000000A31C: 689290FF 000000C3
	v_cmp_lt_u32_e64 s[98:99], v73, v105                       // 00000000A324: D0C90062 0002D349
	s_nop 0                                                    // 00000000A32C: BF800000
	v_cndmask_b32_e64 v31, v107, v31, s[98:99]                 // 00000000A330: D100001F 018A3F6B
	v_mov_b32_e32 v92, v16                                     // 00000000A338: 7EB80310
	v_max3_f32 v92, v16, v17, v92                              // 00000000A33C: D1D3005C 05722310
	v_max3_f32 v92, v18, v19, v92                              // 00000000A344: D1D3005C 05722712
	v_max3_f32 v92, v20, v21, v92                              // 00000000A34C: D1D3005C 05722B14
	v_max3_f32 v92, v22, v23, v92                              // 00000000A354: D1D3005C 05722F16
	v_max3_f32 v92, v24, v25, v92                              // 00000000A35C: D1D3005C 05723318
	v_max3_f32 v92, v26, v27, v92                              // 00000000A364: D1D3005C 0572371A
	v_max3_f32 v92, v28, v29, v92                              // 00000000A36C: D1D3005C 05723B1C
	v_max3_f32 v92, v30, v31, v92                              // 00000000A374: D1D3005C 05723F1E
	ds_write_b32 v128, v92                                     // 00000000A37C: D81A0000 00005C80
	v_pk_mul_f32 v[56:57], v[94:95], v[56:57]                  // 00000000A384: D3B14038 1802715E
	v_pk_mul_f32 v[58:59], v[94:95], v[58:59]                  // 00000000A38C: D3B1403A 1802755E
	v_pk_mul_f32 v[60:61], v[94:95], v[60:61]                  // 00000000A394: D3B1403C 1802795E
	v_pk_mul_f32 v[62:63], v[94:95], v[62:63]                  // 00000000A39C: D3B1403E 18027D5E
	buffer_load_dwordx4 a[20:23], v111, s[12:15], 0 offen offset:2048// 00000000A3A4: E05C1800 8083146F
	s_waitcnt lgkmcnt(0)                                       // 00000000A3AC: BF8CC07F
	s_barrier                                                  // 00000000A3B0: BF8A0000
	ds_read_b32 v76, v129                                      // 00000000A3B4: D86C0000 4C000081
	ds_read_b32 v77, v129 offset:64                            // 00000000A3BC: D86C0040 4D000081
	ds_read_b32 v78, v129 offset:128                           // 00000000A3C4: D86C0080 4E000081
	ds_read_b32 v79, v129 offset:192                           // 00000000A3CC: D86C00C0 4F000081
	ds_read_b32 v80, v129 offset:256                           // 00000000A3D4: D86C0100 50000081
	ds_read_b32 v81, v129 offset:320                           // 00000000A3DC: D86C0140 51000081
	ds_read_b32 v82, v129 offset:384                           // 00000000A3E4: D86C0180 52000081
	ds_read_b32 v83, v129 offset:448                           // 00000000A3EC: D86C01C0 53000081
	ds_read_b32 v84, v129 offset:512                           // 00000000A3F4: D86C0200 54000081
	ds_read_b32 v85, v129 offset:576                           // 00000000A3FC: D86C0240 55000081
	ds_read_b32 v86, v129 offset:640                           // 00000000A404: D86C0280 56000081
	ds_read_b32 v87, v129 offset:704                           // 00000000A40C: D86C02C0 57000081
	ds_read_b32 v88, v129 offset:768                           // 00000000A414: D86C0300 58000081
	ds_read_b32 v89, v129 offset:832                           // 00000000A41C: D86C0340 59000081
	ds_read_b32 v90, v129 offset:896                           // 00000000A424: D86C0380 5A000081
	ds_read_b32 v91, v129 offset:960                           // 00000000A42C: D86C03C0 5B000081
	buffer_load_dwordx4 a[28:31], v111, s[12:15], 0 offen offset:3072// 00000000A434: E05C1C00 80831C6F
	v_pk_mul_f32 v[48:49], v[70:71], v[48:49]                  // 00000000A43C: D3B14030 18026146
	v_pk_mul_f32 v[50:51], v[70:71], v[50:51]                  // 00000000A444: D3B14032 18026546
	v_pk_mul_f32 v[52:53], v[70:71], v[52:53]                  // 00000000A44C: D3B14034 18026946
	v_pk_mul_f32 v[54:55], v[70:71], v[54:55]                  // 00000000A454: D3B14036 18026D46
	buffer_load_dwordx4 a[24:27], v110, s[12:15], 0 offen offset:3072// 00000000A45C: E05C1C00 8083186E
	s_waitcnt lgkmcnt(0)                                       // 00000000A464: BF8CC07F
	v_max3_f32 v92, v76, v77, v92                              // 00000000A468: D1D3005C 05729B4C
	v_max3_f32 v92, v78, v79, v92                              // 00000000A470: D1D3005C 05729F4E
	v_max3_f32 v92, v80, v81, v92                              // 00000000A478: D1D3005C 0572A350
	v_max3_f32 v92, v82, v83, v92                              // 00000000A480: D1D3005C 0572A752
	v_max3_f32 v92, v84, v85, v92                              // 00000000A488: D1D3005C 0572AB54
	v_max3_f32 v92, v86, v87, v92                              // 00000000A490: D1D3005C 0572AF56
	v_max3_f32 v92, v88, v89, v92                              // 00000000A498: D1D3005C 0572B358
	v_max3_f32 v92, v90, v91, v92                              // 00000000A4A0: D1D3005C 0572B75A
	v_max_f32_e32 v97, v92, v96                                // 00000000A4A8: 16C2C15C
	v_mul_f32_e64 v72, -s46, v97                               // 00000000A4AC: D1050048 2002C22E
	v_mov_b32_e32 v73, v72                                     // 00000000A4B4: 7E920348
	v_pk_fma_f32 v[16:17], v[16:17], s[46:47], v[72:73]        // 00000000A4B8: D3B04010 1D205D10
	v_pk_fma_f32 v[18:19], v[18:19], s[46:47], v[72:73]        // 00000000A4C0: D3B04012 1D205D12
	v_exp_f32_e32 v16, v16                                     // 00000000A4C8: 7E204110
	v_exp_f32_e32 v17, v17                                     // 00000000A4CC: 7E224111
	v_exp_f32_e32 v18, v18                                     // 00000000A4D0: 7E244112
	v_exp_f32_e32 v19, v19                                     // 00000000A4D4: 7E264113
	v_pk_fma_f32 v[20:21], v[20:21], s[46:47], v[72:73]        // 00000000A4D8: D3B04014 1D205D14
	v_pk_fma_f32 v[22:23], v[22:23], s[46:47], v[72:73]        // 00000000A4E0: D3B04016 1D205D16
	v_exp_f32_e32 v20, v20                                     // 00000000A4E8: 7E284114
	v_exp_f32_e32 v21, v21                                     // 00000000A4EC: 7E2A4115
	v_exp_f32_e32 v22, v22                                     // 00000000A4F0: 7E2C4116
	v_exp_f32_e32 v23, v23                                     // 00000000A4F4: 7E2E4117
	v_pk_fma_f32 v[24:25], v[24:25], s[46:47], v[72:73]        // 00000000A4F8: D3B04018 1D205D18
	v_pk_fma_f32 v[26:27], v[26:27], s[46:47], v[72:73]        // 00000000A500: D3B0401A 1D205D1A
	v_exp_f32_e32 v24, v24                                     // 00000000A508: 7E304118
	v_exp_f32_e32 v25, v25                                     // 00000000A50C: 7E324119
	v_exp_f32_e32 v26, v26                                     // 00000000A510: 7E34411A
	v_exp_f32_e32 v27, v27                                     // 00000000A514: 7E36411B
	v_pk_fma_f32 v[28:29], v[28:29], s[46:47], v[72:73]        // 00000000A518: D3B0401C 1D205D1C
	v_pk_fma_f32 v[30:31], v[30:31], s[46:47], v[72:73]        // 00000000A520: D3B0401E 1D205D1E
	v_exp_f32_e32 v28, v28                                     // 00000000A528: 7E38411C
	v_exp_f32_e32 v29, v29                                     // 00000000A52C: 7E3A411D
	v_exp_f32_e32 v30, v30                                     // 00000000A530: 7E3C411E
	v_exp_f32_e32 v31, v31                                     // 00000000A534: 7E3E411F
	v_mul_f32_dpp v32, v69, v16 row_newbcast:0 row_mask:0xf bank_mask:0xf// 00000000A538: 0A4020FA FF015045
	v_mul_f32_dpp v33, v69, v17 row_newbcast:1 row_mask:0xf bank_mask:0xf// 00000000A540: 0A4222FA FF015145
	v_mul_f32_dpp v34, v69, v18 row_newbcast:2 row_mask:0xf bank_mask:0xf// 00000000A548: 0A4424FA FF015245
	v_mul_f32_dpp v35, v69, v19 row_newbcast:3 row_mask:0xf bank_mask:0xf// 00000000A550: 0A4626FA FF015345
	v_mul_f32_dpp v36, v69, v20 row_newbcast:4 row_mask:0xf bank_mask:0xf// 00000000A558: 0A4828FA FF015445
	v_mul_f32_dpp v37, v69, v21 row_newbcast:5 row_mask:0xf bank_mask:0xf// 00000000A560: 0A4A2AFA FF015545
	v_mul_f32_dpp v38, v69, v22 row_newbcast:6 row_mask:0xf bank_mask:0xf// 00000000A568: 0A4C2CFA FF015645
	v_mul_f32_dpp v39, v69, v23 row_newbcast:7 row_mask:0xf bank_mask:0xf// 00000000A570: 0A4E2EFA FF015745
	v_mul_f32_dpp v40, v69, v24 row_newbcast:8 row_mask:0xf bank_mask:0xf// 00000000A578: 0A5030FA FF015845
	v_mul_f32_dpp v41, v69, v25 row_newbcast:9 row_mask:0xf bank_mask:0xf// 00000000A580: 0A5232FA FF015945
	v_mul_f32_dpp v42, v69, v26 row_newbcast:10 row_mask:0xf bank_mask:0xf// 00000000A588: 0A5434FA FF015A45
	v_mul_f32_dpp v43, v69, v27 row_newbcast:11 row_mask:0xf bank_mask:0xf// 00000000A590: 0A5636FA FF015B45
	v_mul_f32_dpp v44, v69, v28 row_newbcast:12 row_mask:0xf bank_mask:0xf// 00000000A598: 0A5838FA FF015C45
	v_mul_f32_dpp v45, v69, v29 row_newbcast:13 row_mask:0xf bank_mask:0xf// 00000000A5A0: 0A5A3AFA FF015D45
	v_mul_f32_dpp v46, v69, v30 row_newbcast:14 row_mask:0xf bank_mask:0xf// 00000000A5A8: 0A5C3CFA FF015E45
	v_mul_f32_dpp v47, v69, v31 row_newbcast:15 row_mask:0xf bank_mask:0xf// 00000000A5B0: 0A5E3EFA FF015F45
	v_add_u32_e32 v72, s64, v106                               // 00000000A5B8: 6890D440
	v_add_u32_e32 v73, 0, v72                                  // 00000000A5BC: 68929080
	v_cmp_lt_u32_e32 vcc, v73, v105                            // 00000000A5C0: 7D92D349
	v_cndmask_b32_e32 v32, 0, v32, vcc                         // 00000000A5C4: 00404080
	v_add_u32_e32 v73, 1, v72                                  // 00000000A5C8: 68929081
	v_cmp_lt_u32_e32 vcc, v73, v105                            // 00000000A5CC: 7D92D349
	v_cndmask_b32_e32 v33, 0, v33, vcc                         // 00000000A5D0: 00424280
	v_add_u32_e32 v73, 2, v72                                  // 00000000A5D4: 68929082
	v_cmp_lt_u32_e32 vcc, v73, v105                            // 00000000A5D8: 7D92D349
	v_cndmask_b32_e32 v34, 0, v34, vcc                         // 00000000A5DC: 00444480
	v_add_u32_e32 v73, 3, v72                                  // 00000000A5E0: 68929083
	v_cmp_lt_u32_e32 vcc, v73, v105                            // 00000000A5E4: 7D92D349
	v_cndmask_b32_e32 v35, 0, v35, vcc                         // 00000000A5E8: 00464680
	v_add_u32_e32 v73, 64, v72                                 // 00000000A5EC: 689290C0
	v_cmp_lt_u32_e32 vcc, v73, v105                            // 00000000A5F0: 7D92D349
	v_cndmask_b32_e32 v36, 0, v36, vcc                         // 00000000A5F4: 00484880
	v_add_u32_e32 v73, 0x41, v72                               // 00000000A5F8: 689290FF 00000041
	v_cmp_lt_u32_e32 vcc, v73, v105                            // 00000000A600: 7D92D349
	v_cndmask_b32_e32 v37, 0, v37, vcc                         // 00000000A604: 004A4A80
	v_add_u32_e32 v73, 0x42, v72                               // 00000000A608: 689290FF 00000042
	v_cmp_lt_u32_e32 vcc, v73, v105                            // 00000000A610: 7D92D349
	v_cndmask_b32_e32 v38, 0, v38, vcc                         // 00000000A614: 004C4C80
	v_add_u32_e32 v73, 0x43, v72                               // 00000000A618: 689290FF 00000043
	v_cmp_lt_u32_e32 vcc, v73, v105                            // 00000000A620: 7D92D349
	v_cndmask_b32_e32 v39, 0, v39, vcc                         // 00000000A624: 004E4E80
	v_add_u32_e32 v73, 0x80, v72                               // 00000000A628: 689290FF 00000080
	v_cmp_lt_u32_e32 vcc, v73, v105                            // 00000000A630: 7D92D349
	v_cndmask_b32_e32 v40, 0, v40, vcc                         // 00000000A634: 00505080
	v_add_u32_e32 v73, 0x81, v72                               // 00000000A638: 689290FF 00000081
	v_cmp_lt_u32_e32 vcc, v73, v105                            // 00000000A640: 7D92D349
	v_cndmask_b32_e32 v41, 0, v41, vcc                         // 00000000A644: 00525280
	v_add_u32_e32 v73, 0x82, v72                               // 00000000A648: 689290FF 00000082
	v_cmp_lt_u32_e32 vcc, v73, v105                            // 00000000A650: 7D92D349
	v_cndmask_b32_e32 v42, 0, v42, vcc                         // 00000000A654: 00545480
	v_add_u32_e32 v73, 0x83, v72                               // 00000000A658: 689290FF 00000083
	v_cmp_lt_u32_e32 vcc, v73, v105                            // 00000000A660: 7D92D349
	v_cndmask_b32_e32 v43, 0, v43, vcc                         // 00000000A664: 00565680
	v_add_u32_e32 v73, 0xc0, v72                               // 00000000A668: 689290FF 000000C0
	v_cmp_lt_u32_e32 vcc, v73, v105                            // 00000000A670: 7D92D349
	v_cndmask_b32_e32 v44, 0, v44, vcc                         // 00000000A674: 00585880
	v_add_u32_e32 v73, 0xc1, v72                               // 00000000A678: 689290FF 000000C1
	v_cmp_lt_u32_e32 vcc, v73, v105                            // 00000000A680: 7D92D349
	v_cndmask_b32_e32 v45, 0, v45, vcc                         // 00000000A684: 005A5A80
	v_add_u32_e32 v73, 0xc2, v72                               // 00000000A688: 689290FF 000000C2
	v_cmp_lt_u32_e32 vcc, v73, v105                            // 00000000A690: 7D92D349
	v_cndmask_b32_e32 v46, 0, v46, vcc                         // 00000000A694: 005C5C80
	v_add_u32_e32 v73, 0xc3, v72                               // 00000000A698: 689290FF 000000C3
	v_cmp_lt_u32_e32 vcc, v73, v105                            // 00000000A6A0: 7D92D349
	v_cndmask_b32_e32 v47, 0, v47, vcc                         // 00000000A6A4: 005E5E80
	v_mov_b32_e32 v92, 0x358637bd                              // 00000000A6A8: 7EB802FF 358637BD
	v_max3_f32 v92, |v32|, |v33|, v92                          // 00000000A6B0: D1D3035C 05724320
	v_max3_f32 v92, |v34|, |v35|, v92                          // 00000000A6B8: D1D3035C 05724722
	v_max3_f32 v92, |v36|, |v37|, v92                          // 00000000A6C0: D1D3035C 05724B24
	v_max3_f32 v92, |v38|, |v39|, v92                          // 00000000A6C8: D1D3035C 05724F26
	v_max3_f32 v92, |v40|, |v41|, v92                          // 00000000A6D0: D1D3035C 05725328
	v_max3_f32 v92, |v42|, |v43|, v92                          // 00000000A6D8: D1D3035C 0572572A
	v_max3_f32 v92, |v44|, |v45|, v92                          // 00000000A6E0: D1D3035C 05725B2C
	v_max3_f32 v92, |v46|, |v47|, v92                          // 00000000A6E8: D1D3035C 05725F2E
	ds_write_b32 v128, v92 offset:1280                         // 00000000A6F0: D81A0500 00005C80
	buffer_load_dword v66, v116, s[20:23], 0 offen             // 00000000A6F8: E0501000 80054274
	v_sub_f32_e32 v94, v96, v97                                // 00000000A700: 04BCC360
	v_cmp_eq_u32_e64 s[98:99], v107, v96                       // 00000000A704: D0CA0062 0002C16B
	s_nop 0                                                    // 00000000A70C: BF800000
	v_cndmask_b32_e64 v94, v94, 0, s[98:99]                    // 00000000A710: D100005E 0189015E
	v_mov_b32_e32 v96, v97                                     // 00000000A718: 7EC00361
	v_mul_f32_e32 v94, s46, v94                                // 00000000A71C: 0ABCBC2E
	v_exp_f32_e32 v94, v94                                     // 00000000A720: 7EBC415E
	s_nop 0                                                    // 00000000A724: BF800000
	v_mov_b32_e32 v95, v94                                     // 00000000A728: 7EBE035E
	buffer_load_dword v68, v117, s[24:27], 0 offen             // 00000000A72C: E0501000 80064475
	s_waitcnt lgkmcnt(0)                                       // 00000000A734: BF8CC07F
	s_barrier                                                  // 00000000A738: BF8A0000
	ds_read_b32 v76, v129 offset:1280                          // 00000000A73C: D86C0500 4C000081
	ds_read_b32 v77, v129 offset:1344                          // 00000000A744: D86C0540 4D000081
	ds_read_b32 v78, v129 offset:1408                          // 00000000A74C: D86C0580 4E000081
	ds_read_b32 v79, v129 offset:1472                          // 00000000A754: D86C05C0 4F000081
	ds_read_b32 v80, v129 offset:1536                          // 00000000A75C: D86C0600 50000081
	ds_read_b32 v81, v129 offset:1600                          // 00000000A764: D86C0640 51000081
	ds_read_b32 v82, v129 offset:1664                          // 00000000A76C: D86C0680 52000081
	ds_read_b32 v83, v129 offset:1728                          // 00000000A774: D86C06C0 53000081
	ds_read_b32 v84, v129 offset:1792                          // 00000000A77C: D86C0700 54000081
	ds_read_b32 v85, v129 offset:1856                          // 00000000A784: D86C0740 55000081
	ds_read_b32 v86, v129 offset:1920                          // 00000000A78C: D86C0780 56000081
	ds_read_b32 v87, v129 offset:1984                          // 00000000A794: D86C07C0 57000081
	ds_read_b32 v88, v129 offset:2048                          // 00000000A79C: D86C0800 58000081
	ds_read_b32 v89, v129 offset:2112                          // 00000000A7A4: D86C0840 59000081
	ds_read_b32 v90, v129 offset:2176                          // 00000000A7AC: D86C0880 5A000081
	ds_read_b32 v91, v129 offset:2240                          // 00000000A7B4: D86C08C0 5B000081
	buffer_load_dwordx4 a[64:67], v112, s[16:19], 0 offen      // 00000000A7BC: E05C1000 80844070
	v_mul_f32_e32 v98, v94, v98                                // 00000000A7C4: 0AC4C55E
	v_add_f32_e32 v98, v16, v98                                // 00000000A7C8: 02C4C510
	v_add_f32_e32 v98, v17, v98                                // 00000000A7CC: 02C4C511
	v_add_f32_e32 v98, v18, v98                                // 00000000A7D0: 02C4C512
	v_add_f32_e32 v98, v19, v98                                // 00000000A7D4: 02C4C513
	v_add_f32_e32 v98, v20, v98                                // 00000000A7D8: 02C4C514
	v_add_f32_e32 v98, v21, v98                                // 00000000A7DC: 02C4C515
	v_add_f32_e32 v98, v22, v98                                // 00000000A7E0: 02C4C516
	v_add_f32_e32 v98, v23, v98                                // 00000000A7E4: 02C4C517
	v_add_f32_e32 v98, v24, v98                                // 00000000A7E8: 02C4C518
	v_add_f32_e32 v98, v25, v98                                // 00000000A7EC: 02C4C519
	v_add_f32_e32 v98, v26, v98                                // 00000000A7F0: 02C4C51A
	v_add_f32_e32 v98, v27, v98                                // 00000000A7F4: 02C4C51B
	v_add_f32_e32 v98, v28, v98                                // 00000000A7F8: 02C4C51C
	v_add_f32_e32 v98, v29, v98                                // 00000000A7FC: 02C4C51D
	v_add_f32_e32 v98, v30, v98                                // 00000000A800: 02C4C51E
	v_add_f32_e32 v98, v31, v98                                // 00000000A804: 02C4C51F
	buffer_load_dwordx4 a[68:71], v113, s[16:19], 0 offen      // 00000000A808: E05C1000 80844471
	s_waitcnt lgkmcnt(0)                                       // 00000000A810: BF8CC07F
	v_max3_f32 v92, v76, v77, v92                              // 00000000A814: D1D3005C 05729B4C
	v_max3_f32 v92, v78, v79, v92                              // 00000000A81C: D1D3005C 05729F4E
	v_max3_f32 v92, v80, v81, v92                              // 00000000A824: D1D3005C 0572A350
	v_max3_f32 v92, v82, v83, v92                              // 00000000A82C: D1D3005C 0572A752
	v_max3_f32 v92, v84, v85, v92                              // 00000000A834: D1D3005C 0572AB54
	v_max3_f32 v92, v86, v87, v92                              // 00000000A83C: D1D3005C 0572AF56
	v_max3_f32 v92, v88, v89, v92                              // 00000000A844: D1D3005C 0572B358
	v_max3_f32 v92, v90, v91, v92                              // 00000000A84C: D1D3005C 0572B75A
	v_rcp_f32_e32 v92, v92                                     // 00000000A854: 7EB8455C
	s_nop 0                                                    // 00000000A858: BF800000
	v_mul_f32_e32 v92, 0x43700000, v92                         // 00000000A85C: 0AB8B8FF 43700000
	v_mov_b32_e32 v93, v92                                     // 00000000A864: 7EBA035C
	v_pk_mul_f32 v[16:17], v[92:93], v[32:33]                  // 00000000A868: D3B14010 1802415C
	v_pk_mul_f32 v[18:19], v[92:93], v[34:35]                  // 00000000A870: D3B14012 1802455C
	v_pk_mul_f32 v[20:21], v[92:93], v[36:37]                  // 00000000A878: D3B14014 1802495C
	v_pk_mul_f32 v[22:23], v[92:93], v[38:39]                  // 00000000A880: D3B14016 18024D5C
	v_pk_mul_f32 v[24:25], v[92:93], v[40:41]                  // 00000000A888: D3B14018 1802515C
	v_pk_mul_f32 v[26:27], v[92:93], v[42:43]                  // 00000000A890: D3B1401A 1802555C
	v_pk_mul_f32 v[28:29], v[92:93], v[44:45]                  // 00000000A898: D3B1401C 1802595C
	v_pk_mul_f32 v[30:31], v[92:93], v[46:47]                  // 00000000A8A0: D3B1401E 18025D5C
	v_cvt_pk_fp8_f32 v16, v16, v17                             // 00000000A8A8: D2A20010 00022310
	v_cvt_pk_fp8_f32 v16, v18, v19 op_sel:[0,0,1]              // 00000000A8B0: D2A24010 00022712
	v_cvt_pk_fp8_f32 v17, v20, v21                             // 00000000A8B8: D2A20011 00022B14
	v_cvt_pk_fp8_f32 v17, v22, v23 op_sel:[0,0,1]              // 00000000A8C0: D2A24011 00022F16
	v_cvt_pk_fp8_f32 v18, v24, v25                             // 00000000A8C8: D2A20012 00023318
	v_cvt_pk_fp8_f32 v18, v26, v27 op_sel:[0,0,1]              // 00000000A8D0: D2A24012 0002371A
	v_cvt_pk_fp8_f32 v19, v28, v29                             // 00000000A8D8: D2A20013 00023B1C
	v_cvt_pk_fp8_f32 v19, v30, v31 op_sel:[0,0,1]              // 00000000A8E0: D2A24013 00023F1E
	ds_write_b32 v130, v16 offset:2560                         // 00000000A8E8: D81A0A00 00001082
	ds_write_b32 v130, v17 offset:3584                         // 00000000A8F0: D81A0E00 00001182
	ds_write_b32 v130, v18 offset:4608                         // 00000000A8F8: D81A1200 00001282
	ds_write_b32 v130, v19 offset:5632                         // 00000000A900: D81A1600 00001382
	v_rcp_f32_e32 v70, v92                                     // 00000000A908: 7E8C455C
	s_nop 0                                                    // 00000000A90C: BF800000
	v_mov_b32_e32 v71, v70                                     // 00000000A910: 7E8E0346
	buffer_load_dwordx4 a[72:75], v114, s[16:19], 0 offen      // 00000000A914: E05C1000 80844872
	v_pk_add_f32 v[56:57], v[56:57], v[48:49]                  // 00000000A91C: D3B24038 18026138
	v_pk_add_f32 v[58:59], v[58:59], v[50:51]                  // 00000000A924: D3B2403A 1802653A
	v_pk_add_f32 v[60:61], v[60:61], v[52:53]                  // 00000000A92C: D3B2403C 1802693C
	v_pk_add_f32 v[62:63], v[62:63], v[54:55]                  // 00000000A934: D3B2403E 18026D3E
	s_waitcnt lgkmcnt(0)                                       // 00000000A93C: BF8CC07F
	s_barrier                                                  // 00000000A940: BF8A0000
	ds_read_b128 v[16:19], v131 offset:2560                    // 00000000A944: D9FE0A00 10000083
	ds_read_b128 v[20:23], v131 offset:3584                    // 00000000A94C: D9FE0E00 14000083
	ds_read_b128 v[24:27], v131 offset:4608                    // 00000000A954: D9FE1200 18000083
	ds_read_b128 v[28:31], v131 offset:5632                    // 00000000A95C: D9FE1600 1C000083
	buffer_load_dwordx4 a[76:79], v115, s[16:19], 0 offen      // 00000000A964: E05C1000 80844C73
	s_waitcnt vmcnt(14)                                        // 00000000A96C: BF8C0F7E
	v_lshrrev_b32_e32 v100, 4, v0                              // 00000000A970: 20C80084
	v_lshlrev_b32_e32 v100, 4, v100                            // 00000000A974: 24C8C884
	v_add_u32_e32 v72, s64, v100                               // 00000000A978: 6890C840
	v_add_u32_e32 v72, 4, v72                                  // 00000000A97C: 68909084
	v_sub_i32 v72, v72, s62                                    // 00000000A980: D29D0048 00007D48
	s_mov_b32 s54, 0                                           // 00000000A988: BEB60080
	v_add_i32 v73, s54, v72                                    // 00000000A98C: D29C0049 00029036
	v_cmp_lt_i32_e64 vcc, v73, 4                               // 00000000A994: D0C1006A 00010949
	v_min_u32_e32 v73, 4, v73                                  // 00000000A99C: 1C929284
	v_lshlrev_b32_e32 v73, 3, v73                              // 00000000A9A0: 24929283
	v_lshrrev_b32_e64 v74, v73, -1                             // 00000000A9A4: D110004A 00018349
	v_accvgpr_read_b32 v75, a96                                // 00000000A9AC: D3D8404B 18000160
	v_cndmask_b32_e32 v75, 0, v75, vcc                         // 00000000A9B4: 00969680
	v_and_b32_e32 v75, v75, v74                                // 00000000A9B8: 2696954B
	v_accvgpr_write_b32 a96, v75                               // 00000000A9BC: D3D94060 1800014B
	v_accvgpr_read_b32 v75, a112                               // 00000000A9C4: D3D8404B 18000170
	v_cndmask_b32_e32 v75, 0, v75, vcc                         // 00000000A9CC: 00969680
	v_and_b32_e32 v75, v75, v74                                // 00000000A9D0: 2696954B
	v_accvgpr_write_b32 a112, v75                              // 00000000A9D4: D3D94070 1800014B
	s_mov_b32 s54, 4                                           // 00000000A9DC: BEB60084
	v_add_i32 v73, s54, v72                                    // 00000000A9E0: D29C0049 00029036
	v_cmp_lt_i32_e64 vcc, v73, 4                               // 00000000A9E8: D0C1006A 00010949
	v_min_u32_e32 v73, 4, v73                                  // 00000000A9F0: 1C929284
	v_lshlrev_b32_e32 v73, 3, v73                              // 00000000A9F4: 24929283
	v_lshrrev_b32_e64 v74, v73, -1                             // 00000000A9F8: D110004A 00018349
	v_accvgpr_read_b32 v75, a97                                // 00000000AA00: D3D8404B 18000161
	v_cndmask_b32_e32 v75, 0, v75, vcc                         // 00000000AA08: 00969680
	v_and_b32_e32 v75, v75, v74                                // 00000000AA0C: 2696954B
	v_accvgpr_write_b32 a97, v75                               // 00000000AA10: D3D94061 1800014B
	v_accvgpr_read_b32 v75, a113                               // 00000000AA18: D3D8404B 18000171
	v_cndmask_b32_e32 v75, 0, v75, vcc                         // 00000000AA20: 00969680
	v_and_b32_e32 v75, v75, v74                                // 00000000AA24: 2696954B
	v_accvgpr_write_b32 a113, v75                              // 00000000AA28: D3D94071 1800014B
	s_mov_b32 s54, 8                                           // 00000000AA30: BEB60088
	v_add_i32 v73, s54, v72                                    // 00000000AA34: D29C0049 00029036
	v_cmp_lt_i32_e64 vcc, v73, 4                               // 00000000AA3C: D0C1006A 00010949
	v_min_u32_e32 v73, 4, v73                                  // 00000000AA44: 1C929284
	v_lshlrev_b32_e32 v73, 3, v73                              // 00000000AA48: 24929283
	v_lshrrev_b32_e64 v74, v73, -1                             // 00000000AA4C: D110004A 00018349
	v_accvgpr_read_b32 v75, a98                                // 00000000AA54: D3D8404B 18000162
	v_cndmask_b32_e32 v75, 0, v75, vcc                         // 00000000AA5C: 00969680
	v_and_b32_e32 v75, v75, v74                                // 00000000AA60: 2696954B
	v_accvgpr_write_b32 a98, v75                               // 00000000AA64: D3D94062 1800014B
	v_accvgpr_read_b32 v75, a114                               // 00000000AA6C: D3D8404B 18000172
	v_cndmask_b32_e32 v75, 0, v75, vcc                         // 00000000AA74: 00969680
	v_and_b32_e32 v75, v75, v74                                // 00000000AA78: 2696954B
	v_accvgpr_write_b32 a114, v75                              // 00000000AA7C: D3D94072 1800014B
	s_mov_b32 s54, 12                                          // 00000000AA84: BEB6008C
	v_add_i32 v73, s54, v72                                    // 00000000AA88: D29C0049 00029036
	v_cmp_lt_i32_e64 vcc, v73, 4                               // 00000000AA90: D0C1006A 00010949
	v_min_u32_e32 v73, 4, v73                                  // 00000000AA98: 1C929284
	v_lshlrev_b32_e32 v73, 3, v73                              // 00000000AA9C: 24929283
	v_lshrrev_b32_e64 v74, v73, -1                             // 00000000AAA0: D110004A 00018349
	v_accvgpr_read_b32 v75, a99                                // 00000000AAA8: D3D8404B 18000163
	v_cndmask_b32_e32 v75, 0, v75, vcc                         // 00000000AAB0: 00969680
	v_and_b32_e32 v75, v75, v74                                // 00000000AAB4: 2696954B
	v_accvgpr_write_b32 a99, v75                               // 00000000AAB8: D3D94063 1800014B
	v_accvgpr_read_b32 v75, a115                               // 00000000AAC0: D3D8404B 18000173
	v_cndmask_b32_e32 v75, 0, v75, vcc                         // 00000000AAC8: 00969680
	v_and_b32_e32 v75, v75, v74                                // 00000000AACC: 2696954B
	v_accvgpr_write_b32 a115, v75                              // 00000000AAD0: D3D94073 1800014B
	s_mov_b32 s54, 64                                          // 00000000AAD8: BEB600C0
	v_add_i32 v73, s54, v72                                    // 00000000AADC: D29C0049 00029036
	v_cmp_lt_i32_e64 vcc, v73, 4                               // 00000000AAE4: D0C1006A 00010949
	v_min_u32_e32 v73, 4, v73                                  // 00000000AAEC: 1C929284
	v_lshlrev_b32_e32 v73, 3, v73                              // 00000000AAF0: 24929283
	v_lshrrev_b32_e64 v74, v73, -1                             // 00000000AAF4: D110004A 00018349
	v_accvgpr_read_b32 v75, a100                               // 00000000AAFC: D3D8404B 18000164
	v_cndmask_b32_e32 v75, 0, v75, vcc                         // 00000000AB04: 00969680
	v_and_b32_e32 v75, v75, v74                                // 00000000AB08: 2696954B
	v_accvgpr_write_b32 a100, v75                              // 00000000AB0C: D3D94064 1800014B
	v_accvgpr_read_b32 v75, a116                               // 00000000AB14: D3D8404B 18000174
	v_cndmask_b32_e32 v75, 0, v75, vcc                         // 00000000AB1C: 00969680
	v_and_b32_e32 v75, v75, v74                                // 00000000AB20: 2696954B
	v_accvgpr_write_b32 a116, v75                              // 00000000AB24: D3D94074 1800014B
	s_mov_b32 s54, 0x44                                        // 00000000AB2C: BEB600FF 00000044
	v_add_i32 v73, s54, v72                                    // 00000000AB34: D29C0049 00029036
	v_cmp_lt_i32_e64 vcc, v73, 4                               // 00000000AB3C: D0C1006A 00010949
	v_min_u32_e32 v73, 4, v73                                  // 00000000AB44: 1C929284
	v_lshlrev_b32_e32 v73, 3, v73                              // 00000000AB48: 24929283
	v_lshrrev_b32_e64 v74, v73, -1                             // 00000000AB4C: D110004A 00018349
	v_accvgpr_read_b32 v75, a101                               // 00000000AB54: D3D8404B 18000165
	v_cndmask_b32_e32 v75, 0, v75, vcc                         // 00000000AB5C: 00969680
	v_and_b32_e32 v75, v75, v74                                // 00000000AB60: 2696954B
	v_accvgpr_write_b32 a101, v75                              // 00000000AB64: D3D94065 1800014B
	v_accvgpr_read_b32 v75, a117                               // 00000000AB6C: D3D8404B 18000175
	v_cndmask_b32_e32 v75, 0, v75, vcc                         // 00000000AB74: 00969680
	v_and_b32_e32 v75, v75, v74                                // 00000000AB78: 2696954B
	v_accvgpr_write_b32 a117, v75                              // 00000000AB7C: D3D94075 1800014B
	s_mov_b32 s54, 0x48                                        // 00000000AB84: BEB600FF 00000048
	v_add_i32 v73, s54, v72                                    // 00000000AB8C: D29C0049 00029036
	v_cmp_lt_i32_e64 vcc, v73, 4                               // 00000000AB94: D0C1006A 00010949
	v_min_u32_e32 v73, 4, v73                                  // 00000000AB9C: 1C929284
	v_lshlrev_b32_e32 v73, 3, v73                              // 00000000ABA0: 24929283
	v_lshrrev_b32_e64 v74, v73, -1                             // 00000000ABA4: D110004A 00018349
	v_accvgpr_read_b32 v75, a102                               // 00000000ABAC: D3D8404B 18000166
	v_cndmask_b32_e32 v75, 0, v75, vcc                         // 00000000ABB4: 00969680
	v_and_b32_e32 v75, v75, v74                                // 00000000ABB8: 2696954B
	v_accvgpr_write_b32 a102, v75                              // 00000000ABBC: D3D94066 1800014B
	v_accvgpr_read_b32 v75, a118                               // 00000000ABC4: D3D8404B 18000176
	v_cndmask_b32_e32 v75, 0, v75, vcc                         // 00000000ABCC: 00969680
	v_and_b32_e32 v75, v75, v74                                // 00000000ABD0: 2696954B
	v_accvgpr_write_b32 a118, v75                              // 00000000ABD4: D3D94076 1800014B
	s_mov_b32 s54, 0x4c                                        // 00000000ABDC: BEB600FF 0000004C
	v_add_i32 v73, s54, v72                                    // 00000000ABE4: D29C0049 00029036
	v_cmp_lt_i32_e64 vcc, v73, 4                               // 00000000ABEC: D0C1006A 00010949
	v_min_u32_e32 v73, 4, v73                                  // 00000000ABF4: 1C929284
	v_lshlrev_b32_e32 v73, 3, v73                              // 00000000ABF8: 24929283
	v_lshrrev_b32_e64 v74, v73, -1                             // 00000000ABFC: D110004A 00018349
	v_accvgpr_read_b32 v75, a103                               // 00000000AC04: D3D8404B 18000167
	v_cndmask_b32_e32 v75, 0, v75, vcc                         // 00000000AC0C: 00969680
	v_and_b32_e32 v75, v75, v74                                // 00000000AC10: 2696954B
	v_accvgpr_write_b32 a103, v75                              // 00000000AC14: D3D94067 1800014B
	v_accvgpr_read_b32 v75, a119                               // 00000000AC1C: D3D8404B 18000177
	v_cndmask_b32_e32 v75, 0, v75, vcc                         // 00000000AC24: 00969680
	v_and_b32_e32 v75, v75, v74                                // 00000000AC28: 2696954B
	v_accvgpr_write_b32 a119, v75                              // 00000000AC2C: D3D94077 1800014B
	s_mov_b32 s54, 0x80                                        // 00000000AC34: BEB600FF 00000080
	v_add_i32 v73, s54, v72                                    // 00000000AC3C: D29C0049 00029036
	v_cmp_lt_i32_e64 vcc, v73, 4                               // 00000000AC44: D0C1006A 00010949
	v_min_u32_e32 v73, 4, v73                                  // 00000000AC4C: 1C929284
	v_lshlrev_b32_e32 v73, 3, v73                              // 00000000AC50: 24929283
	v_lshrrev_b32_e64 v74, v73, -1                             // 00000000AC54: D110004A 00018349
	v_accvgpr_read_b32 v75, a104                               // 00000000AC5C: D3D8404B 18000168
	v_cndmask_b32_e32 v75, 0, v75, vcc                         // 00000000AC64: 00969680
	v_and_b32_e32 v75, v75, v74                                // 00000000AC68: 2696954B
	v_accvgpr_write_b32 a104, v75                              // 00000000AC6C: D3D94068 1800014B
	v_accvgpr_read_b32 v75, a120                               // 00000000AC74: D3D8404B 18000178
	v_cndmask_b32_e32 v75, 0, v75, vcc                         // 00000000AC7C: 00969680
	v_and_b32_e32 v75, v75, v74                                // 00000000AC80: 2696954B
	v_accvgpr_write_b32 a120, v75                              // 00000000AC84: D3D94078 1800014B
	s_mov_b32 s54, 0x84                                        // 00000000AC8C: BEB600FF 00000084
	v_add_i32 v73, s54, v72                                    // 00000000AC94: D29C0049 00029036
	v_cmp_lt_i32_e64 vcc, v73, 4                               // 00000000AC9C: D0C1006A 00010949
	v_min_u32_e32 v73, 4, v73                                  // 00000000ACA4: 1C929284
	v_lshlrev_b32_e32 v73, 3, v73                              // 00000000ACA8: 24929283
	v_lshrrev_b32_e64 v74, v73, -1                             // 00000000ACAC: D110004A 00018349
	v_accvgpr_read_b32 v75, a105                               // 00000000ACB4: D3D8404B 18000169
	v_cndmask_b32_e32 v75, 0, v75, vcc                         // 00000000ACBC: 00969680
	v_and_b32_e32 v75, v75, v74                                // 00000000ACC0: 2696954B
	v_accvgpr_write_b32 a105, v75                              // 00000000ACC4: D3D94069 1800014B
	v_accvgpr_read_b32 v75, a121                               // 00000000ACCC: D3D8404B 18000179
	v_cndmask_b32_e32 v75, 0, v75, vcc                         // 00000000ACD4: 00969680
	v_and_b32_e32 v75, v75, v74                                // 00000000ACD8: 2696954B
	v_accvgpr_write_b32 a121, v75                              // 00000000ACDC: D3D94079 1800014B
	s_mov_b32 s54, 0x88                                        // 00000000ACE4: BEB600FF 00000088
	v_add_i32 v73, s54, v72                                    // 00000000ACEC: D29C0049 00029036
	v_cmp_lt_i32_e64 vcc, v73, 4                               // 00000000ACF4: D0C1006A 00010949
	v_min_u32_e32 v73, 4, v73                                  // 00000000ACFC: 1C929284
	v_lshlrev_b32_e32 v73, 3, v73                              // 00000000AD00: 24929283
	v_lshrrev_b32_e64 v74, v73, -1                             // 00000000AD04: D110004A 00018349
	v_accvgpr_read_b32 v75, a106                               // 00000000AD0C: D3D8404B 1800016A
	v_cndmask_b32_e32 v75, 0, v75, vcc                         // 00000000AD14: 00969680
	v_and_b32_e32 v75, v75, v74                                // 00000000AD18: 2696954B
	v_accvgpr_write_b32 a106, v75                              // 00000000AD1C: D3D9406A 1800014B
	v_accvgpr_read_b32 v75, a122                               // 00000000AD24: D3D8404B 1800017A
	v_cndmask_b32_e32 v75, 0, v75, vcc                         // 00000000AD2C: 00969680
	v_and_b32_e32 v75, v75, v74                                // 00000000AD30: 2696954B
	v_accvgpr_write_b32 a122, v75                              // 00000000AD34: D3D9407A 1800014B
	s_mov_b32 s54, 0x8c                                        // 00000000AD3C: BEB600FF 0000008C
	v_add_i32 v73, s54, v72                                    // 00000000AD44: D29C0049 00029036
	v_cmp_lt_i32_e64 vcc, v73, 4                               // 00000000AD4C: D0C1006A 00010949
	v_min_u32_e32 v73, 4, v73                                  // 00000000AD54: 1C929284
	v_lshlrev_b32_e32 v73, 3, v73                              // 00000000AD58: 24929283
	v_lshrrev_b32_e64 v74, v73, -1                             // 00000000AD5C: D110004A 00018349
	v_accvgpr_read_b32 v75, a107                               // 00000000AD64: D3D8404B 1800016B
	v_cndmask_b32_e32 v75, 0, v75, vcc                         // 00000000AD6C: 00969680
	v_and_b32_e32 v75, v75, v74                                // 00000000AD70: 2696954B
	v_accvgpr_write_b32 a107, v75                              // 00000000AD74: D3D9406B 1800014B
	v_accvgpr_read_b32 v75, a123                               // 00000000AD7C: D3D8404B 1800017B
	v_cndmask_b32_e32 v75, 0, v75, vcc                         // 00000000AD84: 00969680
	v_and_b32_e32 v75, v75, v74                                // 00000000AD88: 2696954B
	v_accvgpr_write_b32 a123, v75                              // 00000000AD8C: D3D9407B 1800014B
	s_mov_b32 s54, 0xc0                                        // 00000000AD94: BEB600FF 000000C0
	v_add_i32 v73, s54, v72                                    // 00000000AD9C: D29C0049 00029036
	v_cmp_lt_i32_e64 vcc, v73, 4                               // 00000000ADA4: D0C1006A 00010949
	v_min_u32_e32 v73, 4, v73                                  // 00000000ADAC: 1C929284
	v_lshlrev_b32_e32 v73, 3, v73                              // 00000000ADB0: 24929283
	v_lshrrev_b32_e64 v74, v73, -1                             // 00000000ADB4: D110004A 00018349
	v_accvgpr_read_b32 v75, a108                               // 00000000ADBC: D3D8404B 1800016C
	v_cndmask_b32_e32 v75, 0, v75, vcc                         // 00000000ADC4: 00969680
	v_and_b32_e32 v75, v75, v74                                // 00000000ADC8: 2696954B
	v_accvgpr_write_b32 a108, v75                              // 00000000ADCC: D3D9406C 1800014B
	v_accvgpr_read_b32 v75, a124                               // 00000000ADD4: D3D8404B 1800017C
	v_cndmask_b32_e32 v75, 0, v75, vcc                         // 00000000ADDC: 00969680
	v_and_b32_e32 v75, v75, v74                                // 00000000ADE0: 2696954B
	v_accvgpr_write_b32 a124, v75                              // 00000000ADE4: D3D9407C 1800014B
	s_mov_b32 s54, 0xc4                                        // 00000000ADEC: BEB600FF 000000C4
	v_add_i32 v73, s54, v72                                    // 00000000ADF4: D29C0049 00029036
	v_cmp_lt_i32_e64 vcc, v73, 4                               // 00000000ADFC: D0C1006A 00010949
	v_min_u32_e32 v73, 4, v73                                  // 00000000AE04: 1C929284
	v_lshlrev_b32_e32 v73, 3, v73                              // 00000000AE08: 24929283
	v_lshrrev_b32_e64 v74, v73, -1                             // 00000000AE0C: D110004A 00018349
	v_accvgpr_read_b32 v75, a109                               // 00000000AE14: D3D8404B 1800016D
	v_cndmask_b32_e32 v75, 0, v75, vcc                         // 00000000AE1C: 00969680
	v_and_b32_e32 v75, v75, v74                                // 00000000AE20: 2696954B
	v_accvgpr_write_b32 a109, v75                              // 00000000AE24: D3D9406D 1800014B
	v_accvgpr_read_b32 v75, a125                               // 00000000AE2C: D3D8404B 1800017D
	v_cndmask_b32_e32 v75, 0, v75, vcc                         // 00000000AE34: 00969680
	v_and_b32_e32 v75, v75, v74                                // 00000000AE38: 2696954B
	v_accvgpr_write_b32 a125, v75                              // 00000000AE3C: D3D9407D 1800014B
	s_mov_b32 s54, 0xc8                                        // 00000000AE44: BEB600FF 000000C8
	v_add_i32 v73, s54, v72                                    // 00000000AE4C: D29C0049 00029036
	v_cmp_lt_i32_e64 vcc, v73, 4                               // 00000000AE54: D0C1006A 00010949
	v_min_u32_e32 v73, 4, v73                                  // 00000000AE5C: 1C929284
	v_lshlrev_b32_e32 v73, 3, v73                              // 00000000AE60: 24929283
	v_lshrrev_b32_e64 v74, v73, -1                             // 00000000AE64: D110004A 00018349
	v_accvgpr_read_b32 v75, a110                               // 00000000AE6C: D3D8404B 1800016E
	v_cndmask_b32_e32 v75, 0, v75, vcc                         // 00000000AE74: 00969680
	v_and_b32_e32 v75, v75, v74                                // 00000000AE78: 2696954B
	v_accvgpr_write_b32 a110, v75                              // 00000000AE7C: D3D9406E 1800014B
	v_accvgpr_read_b32 v75, a126                               // 00000000AE84: D3D8404B 1800017E
	v_cndmask_b32_e32 v75, 0, v75, vcc                         // 00000000AE8C: 00969680
	v_and_b32_e32 v75, v75, v74                                // 00000000AE90: 2696954B
	v_accvgpr_write_b32 a126, v75                              // 00000000AE94: D3D9407E 1800014B
	s_mov_b32 s54, 0xcc                                        // 00000000AE9C: BEB600FF 000000CC
	v_add_i32 v73, s54, v72                                    // 00000000AEA4: D29C0049 00029036
	v_cmp_lt_i32_e64 vcc, v73, 4                               // 00000000AEAC: D0C1006A 00010949
	v_min_u32_e32 v73, 4, v73                                  // 00000000AEB4: 1C929284
	v_lshlrev_b32_e32 v73, 3, v73                              // 00000000AEB8: 24929283
	v_lshrrev_b32_e64 v74, v73, -1                             // 00000000AEBC: D110004A 00018349
	v_accvgpr_read_b32 v75, a111                               // 00000000AEC4: D3D8404B 1800016F
	v_cndmask_b32_e32 v75, 0, v75, vcc                         // 00000000AECC: 00969680
	v_and_b32_e32 v75, v75, v74                                // 00000000AED0: 2696954B
	v_accvgpr_write_b32 a111, v75                              // 00000000AED4: D3D9406F 1800014B
	v_accvgpr_read_b32 v75, a127                               // 00000000AEDC: D3D8404B 1800017F
	v_cndmask_b32_e32 v75, 0, v75, vcc                         // 00000000AEE4: 00969680
	v_and_b32_e32 v75, v75, v74                                // 00000000AEE8: 2696954B
	v_accvgpr_write_b32 a127, v75                              // 00000000AEEC: D3D9407F 1800014B
	s_waitcnt lgkmcnt(3)                                       // 00000000AEF4: BF8CC37F
	v_mfma_f32_16x16x32_fp8_fp8 v[48:51], a[96:97], v[16:17], 0// 00000000AEF8: D3F30030 0A022160
	v_mfma_f32_16x16x32_fp8_fp8 v[52:55], a[112:113], v[16:17], 0// 00000000AF00: D3F30034 0A022170
	v_mfma_f32_16x16x32_fp8_fp8 v[48:51], a[98:99], v[18:19], v[48:51]// 00000000AF08: D3F30030 0CC22562
	buffer_load_dwordx4 a[80:83], v112, s[16:19], 0 offen offset:1024// 00000000AF10: E05C1400 80845070
	v_mfma_f32_16x16x32_fp8_fp8 v[52:55], a[114:115], v[18:19], v[52:55]// 00000000AF18: D3F30034 0CD22572
	s_waitcnt lgkmcnt(2)                                       // 00000000AF20: BF8CC27F
	v_mfma_f32_16x16x32_fp8_fp8 v[48:51], a[100:101], v[20:21], v[48:51]// 00000000AF24: D3F30030 0CC22964
	v_mfma_f32_16x16x32_fp8_fp8 v[52:55], a[116:117], v[20:21], v[52:55]// 00000000AF2C: D3F30034 0CD22974
	v_mfma_f32_16x16x32_fp8_fp8 v[48:51], a[102:103], v[22:23], v[48:51]// 00000000AF34: D3F30030 0CC22D66
	buffer_load_dwordx4 a[84:87], v113, s[16:19], 0 offen offset:1024// 00000000AF3C: E05C1400 80845471
	v_mfma_f32_16x16x32_fp8_fp8 v[52:55], a[118:119], v[22:23], v[52:55]// 00000000AF44: D3F30034 0CD22D76
	s_waitcnt lgkmcnt(1)                                       // 00000000AF4C: BF8CC17F
	v_mfma_f32_16x16x32_fp8_fp8 v[48:51], a[104:105], v[24:25], v[48:51]// 00000000AF50: D3F30030 0CC23168
	v_mfma_f32_16x16x32_fp8_fp8 v[52:55], a[120:121], v[24:25], v[52:55]// 00000000AF58: D3F30034 0CD23178
	v_mfma_f32_16x16x32_fp8_fp8 v[48:51], a[106:107], v[26:27], v[48:51]// 00000000AF60: D3F30030 0CC2356A
	buffer_load_dwordx4 a[88:91], v114, s[16:19], 0 offen offset:1024// 00000000AF68: E05C1400 80845872
	v_mfma_f32_16x16x32_fp8_fp8 v[52:55], a[122:123], v[26:27], v[52:55]// 00000000AF70: D3F30034 0CD2357A
	s_waitcnt lgkmcnt(0)                                       // 00000000AF78: BF8CC07F
	v_mfma_f32_16x16x32_fp8_fp8 v[48:51], a[108:109], v[28:29], v[48:51]// 00000000AF7C: D3F30030 0CC2396C
	v_mfma_f32_16x16x32_fp8_fp8 v[52:55], a[124:125], v[28:29], v[52:55]// 00000000AF84: D3F30034 0CD2397C
	v_mfma_f32_16x16x32_fp8_fp8 v[48:51], a[110:111], v[30:31], v[48:51]// 00000000AF8C: D3F30030 0CC23D6E
	buffer_load_dwordx4 a[92:95], v115, s[16:19], 0 offen offset:1024// 00000000AF94: E05C1400 80845C73
	v_mfma_f32_16x16x32_fp8_fp8 v[52:55], a[126:127], v[30:31], v[52:55]// 00000000AF9C: D3F30034 0CD23D7E
	s_addk_i32 s64, 0x100                                      // 00000000AFA4: B7400100
	s_branch label_1213                                        // 00000000AFA8: BF82F028

000000000000afac <label_21EB>:
	ds_write_b32 v128, v98                                     // 00000000AFAC: D81A0000 00006280
	v_pk_mul_f32 v[56:57], v[94:95], v[56:57]                  // 00000000AFB4: D3B14038 1802715E
	v_pk_mul_f32 v[58:59], v[94:95], v[58:59]                  // 00000000AFBC: D3B1403A 1802755E
	v_pk_mul_f32 v[60:61], v[94:95], v[60:61]                  // 00000000AFC4: D3B1403C 1802795E
	v_pk_mul_f32 v[62:63], v[94:95], v[62:63]                  // 00000000AFCC: D3B1403E 18027D5E
	s_waitcnt lgkmcnt(0)                                       // 00000000AFD4: BF8CC07F
	s_barrier                                                  // 00000000AFD8: BF8A0000
	ds_read_b32 v76, v129                                      // 00000000AFDC: D86C0000 4C000081
	ds_read_b32 v77, v129 offset:64                            // 00000000AFE4: D86C0040 4D000081
	ds_read_b32 v78, v129 offset:128                           // 00000000AFEC: D86C0080 4E000081
	ds_read_b32 v79, v129 offset:192                           // 00000000AFF4: D86C00C0 4F000081
	ds_read_b32 v80, v129 offset:256                           // 00000000AFFC: D86C0100 50000081
	ds_read_b32 v81, v129 offset:320                           // 00000000B004: D86C0140 51000081
	ds_read_b32 v82, v129 offset:384                           // 00000000B00C: D86C0180 52000081
	ds_read_b32 v83, v129 offset:448                           // 00000000B014: D86C01C0 53000081
	ds_read_b32 v84, v129 offset:512                           // 00000000B01C: D86C0200 54000081
	ds_read_b32 v85, v129 offset:576                           // 00000000B024: D86C0240 55000081
	ds_read_b32 v86, v129 offset:640                           // 00000000B02C: D86C0280 56000081
	ds_read_b32 v87, v129 offset:704                           // 00000000B034: D86C02C0 57000081
	ds_read_b32 v88, v129 offset:768                           // 00000000B03C: D86C0300 58000081
	ds_read_b32 v89, v129 offset:832                           // 00000000B044: D86C0340 59000081
	ds_read_b32 v90, v129 offset:896                           // 00000000B04C: D86C0380 5A000081
	ds_read_b32 v91, v129 offset:960                           // 00000000B054: D86C03C0 5B000081
	v_pk_mul_f32 v[48:49], v[70:71], v[48:49]                  // 00000000B05C: D3B14030 18026146
	v_pk_mul_f32 v[50:51], v[70:71], v[50:51]                  // 00000000B064: D3B14032 18026546
	v_pk_mul_f32 v[52:53], v[70:71], v[52:53]                  // 00000000B06C: D3B14034 18026946
	v_pk_mul_f32 v[54:55], v[70:71], v[54:55]                  // 00000000B074: D3B14036 18026D46
	v_pk_add_f32 v[56:57], v[56:57], v[48:49]                  // 00000000B07C: D3B24038 18026138
	v_pk_add_f32 v[58:59], v[58:59], v[50:51]                  // 00000000B084: D3B2403A 1802653A
	v_pk_add_f32 v[60:61], v[60:61], v[52:53]                  // 00000000B08C: D3B2403C 1802693C
	v_pk_add_f32 v[62:63], v[62:63], v[54:55]                  // 00000000B094: D3B2403E 18026D3E
	s_waitcnt lgkmcnt(0)                                       // 00000000B09C: BF8CC07F
	v_mov_b64_e32 v[92:93], 0                                  // 00000000B0A0: 7EB87080
	v_pk_add_f32 v[92:93], v[76:77], v[92:93]                  // 00000000B0A4: D3B2405C 1802B94C
	v_pk_add_f32 v[92:93], v[78:79], v[92:93]                  // 00000000B0AC: D3B2405C 1802B94E
	v_pk_add_f32 v[92:93], v[80:81], v[92:93]                  // 00000000B0B4: D3B2405C 1802B950
	v_pk_add_f32 v[92:93], v[82:83], v[92:93]                  // 00000000B0BC: D3B2405C 1802B952
	v_pk_add_f32 v[92:93], v[84:85], v[92:93]                  // 00000000B0C4: D3B2405C 1802B954
	v_pk_add_f32 v[92:93], v[86:87], v[92:93]                  // 00000000B0CC: D3B2405C 1802B956
	v_pk_add_f32 v[92:93], v[88:89], v[92:93]                  // 00000000B0D4: D3B2405C 1802B958
	v_pk_add_f32 v[92:93], v[90:91], v[92:93]                  // 00000000B0DC: D3B2405C 1802B95A
	v_add_f32_e32 v98, v92, v93                                // 00000000B0E4: 02C4BB5C
	v_rcp_f32_e32 v92, v98                                     // 00000000B0E8: 7EB84562
	v_cmp_eq_u32_e64 s[54:55], 0, v98                          // 00000000B0EC: D0CA0036 0002C480
	s_nop 0                                                    // 00000000B0F4: BF800000
	v_cndmask_b32_e64 v92, v92, 0, s[54:55]                    // 00000000B0F8: D100005C 00D9015C
	v_mov_b32_e32 v93, v92                                     // 00000000B100: 7EBA035C
	v_pk_mul_f32 v[56:57], v[92:93], v[56:57]                  // 00000000B104: D3B14038 1802715C
	v_pk_mul_f32 v[58:59], v[92:93], v[58:59]                  // 00000000B10C: D3B1403A 1802755C
	v_pk_mul_f32 v[60:61], v[92:93], v[60:61]                  // 00000000B114: D3B1403C 1802795C
	v_pk_mul_f32 v[62:63], v[92:93], v[62:63]                  // 00000000B11C: D3B1403E 18027D5C
	s_cmp_eq_i32 s73, -1                                       // 00000000B124: BF00C149
	s_cbranch_scc0 label_228F                                  // 00000000B128: BF840044
	v_cmp_u_f32_e64 s[98:99], v56, v56                         // 00000000B12C: D0480062 00027138
	v_add3_u32 v101, v56, v104, 1                              // 00000000B134: D1FF0065 0206D138
	v_cndmask_b32_e64 v72, v101, v103, s[98:99]                // 00000000B13C: D1000048 018ACF65
	v_cmp_u_f32_e64 s[98:99], v57, v57                         // 00000000B144: D0480062 00027339
	v_add3_u32 v101, v57, v104, 1                              // 00000000B14C: D1FF0065 0206D139
	v_cndmask_b32_e64 v73, v101, v103, s[98:99]                // 00000000B154: D1000049 018ACF65
	v_perm_b32 v56, v73, v72, s56                              // 00000000B15C: D1ED0038 00E29149
	v_cmp_u_f32_e64 s[98:99], v58, v58                         // 00000000B164: D0480062 0002753A
	v_add3_u32 v101, v58, v104, 1                              // 00000000B16C: D1FF0065 0206D13A
	v_cndmask_b32_e64 v72, v101, v103, s[98:99]                // 00000000B174: D1000048 018ACF65
	v_cmp_u_f32_e64 s[98:99], v59, v59                         // 00000000B17C: D0480062 0002773B
	v_add3_u32 v101, v59, v104, 1                              // 00000000B184: D1FF0065 0206D13B
	v_cndmask_b32_e64 v73, v101, v103, s[98:99]                // 00000000B18C: D1000049 018ACF65
	v_perm_b32 v57, v73, v72, s56                              // 00000000B194: D1ED0039 00E29149
	v_cmp_u_f32_e64 s[98:99], v60, v60                         // 00000000B19C: D0480062 0002793C
	v_add3_u32 v101, v60, v104, 1                              // 00000000B1A4: D1FF0065 0206D13C
	v_cndmask_b32_e64 v72, v101, v103, s[98:99]                // 00000000B1AC: D1000048 018ACF65
	v_cmp_u_f32_e64 s[98:99], v61, v61                         // 00000000B1B4: D0480062 00027B3D
	v_add3_u32 v101, v61, v104, 1                              // 00000000B1BC: D1FF0065 0206D13D
	v_cndmask_b32_e64 v73, v101, v103, s[98:99]                // 00000000B1C4: D1000049 018ACF65
	v_perm_b32 v58, v73, v72, s56                              // 00000000B1CC: D1ED003A 00E29149
	v_cmp_u_f32_e64 s[98:99], v62, v62                         // 00000000B1D4: D0480062 00027D3E
	v_add3_u32 v101, v62, v104, 1                              // 00000000B1DC: D1FF0065 0206D13E
	v_cndmask_b32_e64 v72, v101, v103, s[98:99]                // 00000000B1E4: D1000048 018ACF65
	v_cmp_u_f32_e64 s[98:99], v63, v63                         // 00000000B1EC: D0480062 00027F3F
	v_add3_u32 v101, v63, v104, 1                              // 00000000B1F4: D1FF0065 0206D13F
	v_cndmask_b32_e64 v73, v101, v103, s[98:99]                // 00000000B1FC: D1000049 018ACF65
	v_perm_b32 v59, v73, v72, s56                              // 00000000B204: D1ED003B 00E29149
	ds_write_b64 v126, v[56:57] offset:2560                    // 00000000B20C: D89A0A00 0000387E
	ds_write_b64 v126, v[58:59] offset:4864                    // 00000000B214: D89A1300 00003A7E
	s_waitcnt lgkmcnt(0)                                       // 00000000B21C: BF8CC07F
	s_barrier                                                  // 00000000B220: BF8A0000
	ds_read_b128 v[56:59], v127 offset:2560                    // 00000000B224: D9FE0A00 3800007F
	s_waitcnt lgkmcnt(0)                                       // 00000000B22C: BF8CC07F
	buffer_store_dwordx4 v[56:59], v109, s[4:7], 0 offen       // 00000000B230: E07C1000 8001386D
	s_branch label_229F                                        // 00000000B238: BF820010

000000000000b23c <label_228F>:
	v_rcp_f32_e32 v75, 0x3fb8aa3b                              // 00000000B23C: 7E9644FF 3FB8AA3B
	v_log_f32_e32 v72, v98                                     // 00000000B244: 7E904362
	v_mul_f32_e64 v73, v96, s46                                // 00000000B248: D1050049 00005D60
	v_add_f32_e32 v100, v72, v73                               // 00000000B250: 02C89348
	v_mul_f32_e32 v100, v100, v75                              // 00000000B254: 0AC89764
	buffer_store_dword v100, v118, s[32:35], 0 offen           // 00000000B258: E0701000 80086476
	v_add_u32_e32 v72, 0, v120                                 // 00000000B260: 6890F080
	buffer_store_dwordx4 v[56:59], v72, s[28:31], 0 offen      // 00000000B264: E07C1000 80073848
	v_add_u32_e32 v72, 0x100, v120                             // 00000000B26C: 6890F0FF 00000100
	buffer_store_dwordx4 v[60:63], v72, s[28:31], 0 offen      // 00000000B274: E07C1000 80073C48

000000000000b27c <label_229F>:
	s_addk_i32 s80, 0x1                                        // 00000000B27C: B7500001
	s_branch label_015C                                        // 00000000B280: BF82DEBB

000000000000b284 <label_22A1>:
	s_waitcnt vmcnt(0) expcnt(0) lgkmcnt(0)                    // 00000000B284: BF8C0000
	s_endpgm                                                   // 00000000B288: BF810000
